;; amdgpu-corpus repo=ROCm/aiter kind=harvested arch=n/a opt=n/a

/root/src/amdgpu-assembly/repos/ROCm__aiter/hsa/gfx950/f4gemm/f4gemm_bf16_per1x32Fp4_BpreShuffle_64x768.co:	file format elf64-amdgpu

Disassembly of section .text:

0000000000002c00 <_ZN5aiter41f4gemm_bf16_per1x32Fp4_BpreShuffle_64x768E>:
	s_and_b32 s1, s1, 0xffff                                   // 000000002C00: 8601FF01 0000FFFF
	s_load_dwordx2 s[4:5], s[0:1], 0x0                         // 000000002C08: C0060100 00000000
	s_load_dwordx2 s[8:9], s[0:1], 0x10                        // 000000002C10: C0060200 00000010
	s_load_dwordx2 s[12:13], s[0:1], 0x20                      // 000000002C18: C0060300 00000020
	s_load_dwordx2 s[16:17], s[0:1], 0x30                      // 000000002C20: C0060400 00000030
	s_load_dword s41, s[0:1], 0x40                             // 000000002C28: C0020A40 00000040
	s_load_dword s42, s[0:1], 0x50                             // 000000002C30: C0020A80 00000050
	s_load_dword s36, s[0:1], 0x80                             // 000000002C38: C0020900 00000080
	s_load_dword s37, s[0:1], 0xa0                             // 000000002C40: C0020940 000000A0
	s_load_dword s38, s[0:1], 0xc0                             // 000000002C48: C0020980 000000C0
	s_load_dword s43, s[0:1], 0xe0                             // 000000002C50: C0020AC0 000000E0
	s_load_dword s44, s[0:1], 0xf0                             // 000000002C58: C0020B00 000000F0
	s_load_dword s45, s[0:1], 0x100                            // 000000002C60: C0020B40 00000100
	s_load_dwordx2 s[20:21], s[0:1], 0x110                     // 000000002C68: C0060500 00000110
	s_load_dwordx2 s[24:25], s[0:1], 0x120                     // 000000002C70: C0060600 00000120
	s_load_dword s39, s[0:1], 0x130                            // 000000002C78: C00209C0 00000130
	s_load_dword s40, s[0:1], 0x150                            // 000000002C80: C0020A00 00000150
	v_lshrrev_b32_e32 v1, 10, v0                               // 000000002C88: 2002008A
	v_lshrrev_b32_e32 v2, 10, v1                               // 000000002C8C: 2004028A
	v_and_b32_e32 v2, 0x3ff, v2                                // 000000002C90: 260404FF 000003FF
	v_and_b32_e32 v1, 0x3ff, v1                                // 000000002C98: 260202FF 000003FF
	v_and_b32_e32 v0, 0x3ff, v0                                // 000000002CA0: 260000FF 000003FF
	v_lshrrev_b32_e32 v3, 6, v0                                // 000000002CA8: 20060086
	v_and_b32_e32 v0, 63, v0                                   // 000000002CAC: 260000BF
	s_mov_b32 s47, s2                                          // 000000002CB0: BEAF0002
	s_mov_b32 s48, s3                                          // 000000002CB4: BEB00003
	v_readfirstlane_b32 s46, v3                                // 000000002CB8: 7E5C0503
	s_waitcnt lgkmcnt(0)                                       // 000000002CBC: BF8CC07F
	s_add_u32 s51, s44, 0x2ff                                  // 000000002CC0: 8033FF2C 000002FF
	s_mov_b32 s63, 0x300                                       // 000000002CC8: BEBF00FF 00000300
	v_cvt_f32_u32_e32 v4, s63                                  // 000000002CD0: 7E080C3F
	s_sub_i32 s50, 0, s63                                      // 000000002CD4: 81B23F80
	v_rcp_iflag_f32_e32 v4, v4                                 // 000000002CD8: 7E084704
	s_nop 0                                                    // 000000002CDC: BF800000
	v_mul_f32_e32 v4, 0x4f7ffffe, v4                           // 000000002CE0: 0A0808FF 4F7FFFFE
	v_cvt_u32_f32_e32 v4, v4                                   // 000000002CE8: 7E080F04
	v_mul_lo_u32 v5, s50, v4                                   // 000000002CEC: D2850005 00020832
	v_mul_hi_u32 v5, v4, v5                                    // 000000002CF4: D2860005 00020B04
	v_add_u32_e32 v4, v4, v5                                   // 000000002CFC: 68080B04
	v_mul_hi_u32 v4, s51, v4                                   // 000000002D00: D2860004 00020833
	v_mul_lo_u32 v5, v4, s63                                   // 000000002D08: D2850005 00007F04
	v_sub_u32_e32 v7, s51, v5                                  // 000000002D10: 6A0E0A33
	v_add_u32_e32 v6, 1, v4                                    // 000000002D14: 680C0881
	v_cmp_le_u32_e32 vcc, s63, v7                              // 000000002D18: 7D960E3F
	v_subrev_u32_e32 v5, s63, v7                               // 000000002D1C: 6C0A0E3F
	s_nop 0                                                    // 000000002D20: BF800000
	v_cndmask_b32_e32 v4, v4, v6, vcc                          // 000000002D24: 00080D04
	v_cndmask_b32_e32 v7, v7, v5, vcc                          // 000000002D28: 000E0B07
	v_add_u32_e32 v5, 1, v4                                    // 000000002D2C: 680A0881
	v_cmp_le_u32_e32 vcc, s63, v7                              // 000000002D30: 7D960E3F
	s_nop 1                                                    // 000000002D34: BF800001
	v_cndmask_b32_e32 v7, v4, v5, vcc                          // 000000002D38: 000E0B04
	s_nop 3                                                    // 000000002D3C: BF800003
	v_readfirstlane_b32 s50, v7                                // 000000002D40: 7E640507
	s_nop 3                                                    // 000000002D44: BF800003
	s_mul_i32 s49, s50, s48                                    // 000000002D48: 92313032
	s_add_i32 s49, s49, s47                                    // 000000002D4C: 81312F31
	s_add_u32 s51, s43, 63                                     // 000000002D50: 8033BF2B
	s_lshr_b32 s62, s51, 6                                     // 000000002D54: 8F3E8633
	s_lshl_b32 s62, s62, 5                                     // 000000002D58: 8E3E853E
	s_mov_b32 s47, 0                                           // 000000002D5C: BEAF0080

0000000000002d60 <label_0058>:
	s_cmp_lt_i32 s49, s62                                      // 000000002D60: BF043E31
	s_cbranch_scc1 label_005D                                  // 000000002D64: BF850003
	s_sub_i32 s49, s49, s62                                    // 000000002D68: 81B13E31
	s_add_i32 s47, s47, 32                                     // 000000002D6C: 812FA02F
	s_branch label_0058                                        // 000000002D70: BF82FFFB

0000000000002d74 <label_005D>:
	s_sub_i32 s50, s50, s47                                    // 000000002D74: 81B22F32
	s_cmp_lt_i32 s50, 32                                       // 000000002D78: BF04A032
	s_cbranch_scc1 label_0063                                  // 000000002D7C: BF850003
	s_lshr_b32 s48, s49, 5                                     // 000000002D80: 8F308531
	s_and_b32 s62, s49, 31                                     // 000000002D84: 863E9F31
	s_branch label_0083                                        // 000000002D88: BF820020

0000000000002d8c <label_0063>:
	v_cvt_f32_u32_e32 v4, s50                                  // 000000002D8C: 7E080C32
	s_sub_i32 s48, 0, s50                                      // 000000002D90: 81B03280
	v_rcp_iflag_f32_e32 v4, v4                                 // 000000002D94: 7E084704
	s_nop 0                                                    // 000000002D98: BF800000
	v_mul_f32_e32 v4, 0x4f7ffffe, v4                           // 000000002D9C: 0A0808FF 4F7FFFFE
	v_cvt_u32_f32_e32 v4, v4                                   // 000000002DA4: 7E080F04
	v_mul_lo_u32 v5, s48, v4                                   // 000000002DA8: D2850005 00020830
	v_mul_hi_u32 v5, v4, v5                                    // 000000002DB0: D2860005 00020B04
	v_add_u32_e32 v4, v4, v5                                   // 000000002DB8: 68080B04
	v_mul_hi_u32 v4, s49, v4                                   // 000000002DBC: D2860004 00020831
	v_mul_lo_u32 v5, v4, s50                                   // 000000002DC4: D2850005 00006504
	v_sub_u32_e32 v7, s49, v5                                  // 000000002DCC: 6A0E0A31
	v_add_u32_e32 v6, 1, v4                                    // 000000002DD0: 680C0881
	v_cmp_le_u32_e32 vcc, s50, v7                              // 000000002DD4: 7D960E32
	v_subrev_u32_e32 v5, s50, v7                               // 000000002DD8: 6C0A0E32
	s_nop 0                                                    // 000000002DDC: BF800000
	v_cndmask_b32_e32 v4, v4, v6, vcc                          // 000000002DE0: 00080D04
	v_cndmask_b32_e32 v7, v7, v5, vcc                          // 000000002DE4: 000E0B07
	v_add_u32_e32 v5, 1, v4                                    // 000000002DE8: 680A0881
	v_cmp_le_u32_e32 vcc, s50, v7                              // 000000002DEC: 7D960E32
	s_nop 1                                                    // 000000002DF0: BF800001
	v_cndmask_b32_e32 v7, v4, v5, vcc                          // 000000002DF4: 000E0B04
	s_nop 3                                                    // 000000002DF8: BF800003
	v_readfirstlane_b32 s48, v7                                // 000000002DFC: 7E600507
	s_nop 3                                                    // 000000002E00: BF800003
	s_mul_i32 s62, s50, s48                                    // 000000002E04: 923E3032
	s_sub_i32 s62, s49, s62                                    // 000000002E08: 81BE3E31

0000000000002e0c <label_0083>:
	s_add_i32 s47, s62, s47                                    // 000000002E0C: 812F2F3E
	s_lshr_b32 s37, s37, 1                                     // 000000002E10: 8F258125
	s_mul_i32 s62, s48, 64                                     // 000000002E14: 923EC030
	s_mul_hi_u32 s63, s37, s62                                 // 000000002E18: 963F3E25
	s_add_u32 s13, s13, s63                                    // 000000002E1C: 800D3F0D
	s_mul_i32 s63, s37, s62                                    // 000000002E20: 923F3E25
	s_add_u32 s12, s12, s63                                    // 000000002E24: 800C3F0C
	s_addc_u32 s13, s13, 0                                     // 000000002E28: 820D800D
	s_sub_i32 s63, s43, s62                                    // 000000002E2C: 81BF3E2B
	s_cmp_lt_u32 s63, 64                                       // 000000002E30: BF0AC03F
	s_cselect_b32 s62, s63, 64                                 // 000000002E34: 853EC03F
	s_mul_i32 s14, s37, s62                                    // 000000002E38: 920E3E25
	s_mov_b32 s15, 0x20000                                     // 000000002E3C: BE8F00FF 00020000
	v_lshrrev_b32_e32 v4, 3, v0                                // 000000002E44: 20080083
	v_lshrrev_b32_e32 v5, 2, v4                                // 000000002E48: 200A0882
	v_lshlrev_b32_e32 v5, 4, v5                                // 000000002E4C: 240A0A84
	v_and_b32_e32 v4, 3, v4                                    // 000000002E50: 26080883
	v_lshrrev_b32_e32 v6, 1, v4                                // 000000002E54: 200C0881
	v_lshlrev_b32_e32 v6, 2, v6                                // 000000002E58: 240C0C82
	v_add_u32_e32 v5, v5, v6                                   // 000000002E5C: 680A0D05
	v_and_b32_e32 v4, 1, v4                                    // 000000002E60: 26080881
	v_add_u32_e32 v5, v5, v4                                   // 000000002E64: 680A0905
	v_mul_lo_u32 v178, s37, v5                                 // 000000002E68: D28500B2 00020A25
	v_and_b32_e32 v4, 7, v0                                    // 000000002E70: 26080087
	v_lshlrev_b32_e32 v4, 4, v4                                // 000000002E74: 24080884
	v_add_u32_e32 v178, v4, v178                               // 000000002E78: 69656504
	s_lshr_b32 s62, s46, 1                                     // 000000002E7C: 8F3E812E
	s_mul_i32 s62, s62, 8                                      // 000000002E80: 923E883E
	s_and_b32 s63, s46, 1                                      // 000000002E84: 863F812E
	s_mul_i32 s63, s63, 2                                      // 000000002E88: 923F823F
	s_add_u32 s62, s62, s63                                    // 000000002E8C: 803E3F3E
	s_mul_i32 s62, s37, s62                                    // 000000002E90: 923E3E25
	v_add_u32_e32 v178, s62, v178                              // 000000002E94: 6965643E
	s_mul_i32 s62, s37, 32                                     // 000000002E98: 923EA025
	v_add_u32_e32 v179, s62, v178                              // 000000002E9C: 6967643E
	s_mul_i32 s64, 0x420, s46                                  // 000000002EA0: 92402EFF 00000420
	s_add_u32 s64, 0x800, s64                                  // 000000002EA8: 804040FF 00000800
	v_and_b32_e32 v4, 15, v0                                   // 000000002EB0: 2608008F
	v_lshrrev_b32_e32 v5, 3, v4                                // 000000002EB4: 200A0883
	v_mul_i32_i24_e32 v5, 2, v5                                // 000000002EB8: 0C0A0A82
	v_and_b32_e32 v4, 3, v0                                    // 000000002EBC: 26080083
	v_lshrrev_b32_e32 v6, 1, v4                                // 000000002EC0: 200C0881
	v_add_u32_e32 v4, v5, v6                                   // 000000002EC4: 68080D05
	v_mul_i32_i24_e32 v180, 0x420, v4                          // 000000002EC8: 0D6808FF 00000420
	v_and_b32_e32 v4, 7, v0                                    // 000000002ED0: 26080087
	v_lshrrev_b32_e32 v5, 2, v4                                // 000000002ED4: 200A0882
	v_mul_i32_i24_e32 v5, 0x100, v5                            // 000000002ED8: 0C0A0AFF 00000100
	v_add_u32_e32 v180, v5, v180                               // 000000002EE0: 69696905
	v_and_b32_e32 v4, 1, v0                                    // 000000002EE4: 26080081
	v_mul_i32_i24_e32 v6, 0x80, v4                             // 000000002EE8: 0C0C08FF 00000080
	v_add_u32_e32 v180, v6, v180                               // 000000002EF0: 69696906
	v_lshrrev_b32_e32 v4, 4, v0                                // 000000002EF4: 20080084
	v_mul_i32_i24_e32 v4, 16, v4                               // 000000002EF8: 0C080890
	v_add_u32_e32 v180, v4, v180                               // 000000002EFC: 69696904
	v_add_u32_e32 v180, 0x800, v180                            // 000000002F00: 696968FF 00000800
	v_add_u32_e32 v181, 0x2100, v180                           // 000000002F08: 696B68FF 00002100
	s_mul_i32 s62, s48, 64                                     // 000000002F10: 923EC030
	s_mul_hi_u32 s63, s39, s62                                 // 000000002F14: 963F3E27
	s_add_u32 s21, s21, s63                                    // 000000002F18: 80153F15
	s_mul_i32 s63, s39, s62                                    // 000000002F1C: 923F3E27
	s_add_u32 s20, s20, s63                                    // 000000002F20: 80143F14
	s_addc_u32 s21, s21, 0                                     // 000000002F24: 82158015
	s_add_u32 s63, s43, 31                                     // 000000002F28: 803F9F2B
	s_lshr_b32 s63, s63, 5                                     // 000000002F2C: 8F3F853F
	s_lshl_b32 s63, s63, 5                                     // 000000002F30: 8E3F853F
	s_sub_i32 s63, s63, s62                                    // 000000002F34: 81BF3E3F
	s_cmp_lt_u32 s63, 64                                       // 000000002F38: BF0AC03F
	s_cselect_b32 s62, s63, 64                                 // 000000002F3C: 853EC03F
	s_mul_i32 s22, s39, s62                                    // 000000002F40: 92163E27
	s_mov_b32 s23, 0x20000                                     // 000000002F44: BE9700FF 00020000
	v_lshlrev_b32_e32 v182, 2, v0                              // 000000002F4C: 256C0082
	s_mul_i32 s63, s46, 32                                     // 000000002F50: 923FA02E
	s_mul_i32 s63, s63, s39                                    // 000000002F54: 923F273F
	v_add_u32_e32 v182, s63, v182                              // 000000002F58: 696D6C3F
	s_mul_i32 s65, s46, 0x100                                  // 000000002F5C: 9241FF2E 00000100
	s_add_i32 s65, s65, 0                                      // 000000002F64: 81418041
	v_lshlrev_b32_e32 v183, 2, v0                              // 000000002F68: 256E0082
	v_add_u32_e32 v183, 0, v183                                // 000000002F6C: 696F6E80
	s_lshr_b32 s38, s38, 1                                     // 000000002F70: 8F268126
	s_mul_i32 s62, s47, 0x300                                  // 000000002F74: 923EFF2F 00000300
	s_mul_hi_u32 s63, s38, s62                                 // 000000002F7C: 963F3E26
	s_add_u32 s17, s17, s63                                    // 000000002F80: 80113F11
	s_mul_i32 s63, s38, s62                                    // 000000002F84: 923F3E26
	s_add_u32 s16, s16, s63                                    // 000000002F88: 80103F10
	s_addc_u32 s17, s17, 0                                     // 000000002F8C: 82118011
	s_sub_i32 s63, s44, s62                                    // 000000002F90: 81BF3E2C
	s_cmp_lt_u32 s63, 0x300                                    // 000000002F94: BF0AFF3F 00000300
	s_cselect_b32 s62, s63, 0x300                              // 000000002F9C: 853EFF3F 00000300
	s_mul_i32 s18, s38, s62                                    // 000000002FA4: 92123E26
	s_mov_b32 s19, 0x20000                                     // 000000002FA8: BE9300FF 00020000
	v_lshlrev_b32_e32 v184, 4, v0                              // 000000002FB0: 25700084
	s_mul_i32 s63, s46, 0xc0                                   // 000000002FB4: 923FFF2E 000000C0
	s_mul_i32 s62, s63, s38                                    // 000000002FBC: 923E263F
	v_add_u32_e32 v184, s62, v184                              // 000000002FC0: 6971703E
	s_mul_i32 s62, 16, s38                                     // 000000002FC4: 923E2690
	v_add_u32_e32 v185, s62, v184                              // 000000002FC8: 6973703E
	v_add_u32_e32 v186, s62, v185                              // 000000002FCC: 6975723E
	v_add_u32_e32 v187, s62, v186                              // 000000002FD0: 6977743E
	v_add_u32_e32 v188, s62, v187                              // 000000002FD4: 6979763E
	v_add_u32_e32 v189, s62, v188                              // 000000002FD8: 697B783E
	v_add_u32_e32 v190, s62, v189                              // 000000002FDC: 697D7A3E
	v_add_u32_e32 v191, s62, v190                              // 000000002FE0: 697F7C3E
	v_add_u32_e32 v192, s62, v191                              // 000000002FE4: 69817E3E
	v_add_u32_e32 v193, s62, v192                              // 000000002FE8: 6983803E
	v_add_u32_e32 v194, s62, v193                              // 000000002FEC: 6985823E
	v_add_u32_e32 v195, s62, v194                              // 000000002FF0: 6987843E
	s_mul_i32 s62, s47, 0x300                                  // 000000002FF4: 923EFF2F 00000300
	s_mul_hi_u32 s63, s40, s62                                 // 000000002FFC: 963F3E28
	s_add_u32 s25, s25, s63                                    // 000000003000: 80193F19
	s_mul_i32 s63, s40, s62                                    // 000000003004: 923F3E28
	s_add_u32 s24, s24, s63                                    // 000000003008: 80183F18
	s_addc_u32 s25, s25, 0                                     // 00000000300C: 82198019
	s_sub_i32 s63, s44, s62                                    // 000000003010: 81BF3E2C
	s_cmp_lt_u32 s63, 0x300                                    // 000000003014: BF0AFF3F 00000300
	s_cselect_b32 s62, s63, 0x300                              // 00000000301C: 853EFF3F 00000300
	s_mul_i32 s26, s40, s62                                    // 000000003024: 921A3E28
	s_mov_b32 s27, 0x20000                                     // 000000003028: BE9B00FF 00020000
	v_lshlrev_b32_e32 v196, 2, v0                              // 000000003030: 25880082
	s_mul_i32 s63, s46, 0xc0                                   // 000000003034: 923FFF2E 000000C0
	s_mul_i32 s63, s63, s40                                    // 00000000303C: 923F283F
	v_add_u32_e32 v196, s63, v196                              // 000000003040: 6989883F
	s_mul_i32 s62, 32, s40                                     // 000000003044: 923E28A0
	v_add_u32_e32 v197, s62, v196                              // 000000003048: 698B883E
	v_add_u32_e32 v198, s62, v197                              // 00000000304C: 698D8A3E
	v_add_u32_e32 v199, s62, v198                              // 000000003050: 698F8C3E
	v_add_u32_e32 v200, s62, v199                              // 000000003054: 69918E3E
	v_add_u32_e32 v201, s62, v200                              // 000000003058: 6993903E
	s_mov_b32 s66, 0x80                                        // 00000000305C: BEC200FF 00000080
	s_mov_b32 s67, 0x800                                       // 000000003064: BEC300FF 00000800
	s_mov_b32 s68, 0x100                                       // 00000000306C: BEC400FF 00000100
	s_mov_b32 s69, 0x100                                       // 000000003074: BEC500FF 00000100
	s_mov_b32 s60, 0                                           // 00000000307C: BEBC0080
	s_mov_b32 s61, s45                                         // 000000003080: BEBD002D
	s_add_u32 m0, 0, s65                                       // 000000003084: 807C4180
	buffer_load_dword v182, s[20:23], 0 offen lds              // 000000003088: E0511000 800500B6
	v_accvgpr_write_b32 a0, 0                                  // 000000003090: D3D94000 18000080
	v_accvgpr_write_b32 a1, 0                                  // 000000003098: D3D94001 18000080
	v_accvgpr_write_b32 a2, 0                                  // 0000000030A0: D3D94002 18000080
	v_accvgpr_write_b32 a3, 0                                  // 0000000030A8: D3D94003 18000080
	v_accvgpr_write_b32 a4, 0                                  // 0000000030B0: D3D94004 18000080
	v_accvgpr_write_b32 a5, 0                                  // 0000000030B8: D3D94005 18000080
	s_add_u32 m0, 0, s64                                       // 0000000030C0: 807C4080
	buffer_load_dwordx4 v178, s[12:15], 0 offen lds            // 0000000030C4: E05D1000 800300B2
	v_accvgpr_write_b32 a6, 0                                  // 0000000030CC: D3D94006 18000080
	v_accvgpr_write_b32 a7, 0                                  // 0000000030D4: D3D94007 18000080
	v_accvgpr_write_b32 a8, 0                                  // 0000000030DC: D3D94008 18000080
	v_accvgpr_write_b32 a9, 0                                  // 0000000030E4: D3D94009 18000080
	v_accvgpr_write_b32 a10, 0                                 // 0000000030EC: D3D9400A 18000080
	v_accvgpr_write_b32 a11, 0                                 // 0000000030F4: D3D9400B 18000080
	s_add_u32 m0, 0x1080, s64                                  // 0000000030FC: 807C40FF 00001080
	buffer_load_dwordx4 v179, s[12:15], 0 offen lds            // 000000003104: E05D1000 800300B3
	v_accvgpr_write_b32 a12, 0                                 // 00000000310C: D3D9400C 18000080
	v_accvgpr_write_b32 a13, 0                                 // 000000003114: D3D9400D 18000080
	v_accvgpr_write_b32 a14, 0                                 // 00000000311C: D3D9400E 18000080
	v_accvgpr_write_b32 a15, 0                                 // 000000003124: D3D9400F 18000080
	v_accvgpr_write_b32 a16, 0                                 // 00000000312C: D3D94010 18000080
	v_accvgpr_write_b32 a17, 0                                 // 000000003134: D3D94011 18000080
	buffer_load_dwordx4 v[72:75], v184, s[16:19], 0 offen      // 00000000313C: E05C1000 800448B8
	v_accvgpr_write_b32 a18, 0                                 // 000000003144: D3D94012 18000080
	v_accvgpr_write_b32 a19, 0                                 // 00000000314C: D3D94013 18000080
	v_accvgpr_write_b32 a20, 0                                 // 000000003154: D3D94014 18000080
	v_accvgpr_write_b32 a21, 0                                 // 00000000315C: D3D94015 18000080
	v_accvgpr_write_b32 a22, 0                                 // 000000003164: D3D94016 18000080
	v_accvgpr_write_b32 a23, 0                                 // 00000000316C: D3D94017 18000080
	buffer_load_dwordx4 v[76:79], v185, s[16:19], 0 offen      // 000000003174: E05C1000 80044CB9
	v_accvgpr_write_b32 a24, 0                                 // 00000000317C: D3D94018 18000080
	v_accvgpr_write_b32 a25, 0                                 // 000000003184: D3D94019 18000080
	v_accvgpr_write_b32 a26, 0                                 // 00000000318C: D3D9401A 18000080
	v_accvgpr_write_b32 a27, 0                                 // 000000003194: D3D9401B 18000080
	v_accvgpr_write_b32 a28, 0                                 // 00000000319C: D3D9401C 18000080
	v_accvgpr_write_b32 a29, 0                                 // 0000000031A4: D3D9401D 18000080
	buffer_load_dwordx4 v[80:83], v184, s[16:19], 0 offen offset:1024// 0000000031AC: E05C1400 800450B8
	v_accvgpr_write_b32 a30, 0                                 // 0000000031B4: D3D9401E 18000080
	v_accvgpr_write_b32 a31, 0                                 // 0000000031BC: D3D9401F 18000080
	v_accvgpr_write_b32 a32, 0                                 // 0000000031C4: D3D94020 18000080
	v_accvgpr_write_b32 a33, 0                                 // 0000000031CC: D3D94021 18000080
	v_accvgpr_write_b32 a34, 0                                 // 0000000031D4: D3D94022 18000080
	v_accvgpr_write_b32 a35, 0                                 // 0000000031DC: D3D94023 18000080
	buffer_load_dwordx4 v[84:87], v185, s[16:19], 0 offen offset:1024// 0000000031E4: E05C1400 800454B9
	v_accvgpr_write_b32 a36, 0                                 // 0000000031EC: D3D94024 18000080
	v_accvgpr_write_b32 a37, 0                                 // 0000000031F4: D3D94025 18000080
	v_accvgpr_write_b32 a38, 0                                 // 0000000031FC: D3D94026 18000080
	v_accvgpr_write_b32 a39, 0                                 // 000000003204: D3D94027 18000080
	v_accvgpr_write_b32 a40, 0                                 // 00000000320C: D3D94028 18000080
	v_accvgpr_write_b32 a41, 0                                 // 000000003214: D3D94029 18000080
	buffer_load_dword v172, v196, s[24:27], 0 offen            // 00000000321C: E0501000 8006ACC4
	v_accvgpr_write_b32 a42, 0                                 // 000000003224: D3D9402A 18000080
	v_accvgpr_write_b32 a43, 0                                 // 00000000322C: D3D9402B 18000080
	v_accvgpr_write_b32 a44, 0                                 // 000000003234: D3D9402C 18000080
	v_accvgpr_write_b32 a45, 0                                 // 00000000323C: D3D9402D 18000080
	v_accvgpr_write_b32 a46, 0                                 // 000000003244: D3D9402E 18000080
	v_accvgpr_write_b32 a47, 0                                 // 00000000324C: D3D9402F 18000080
	s_add_u32 s62, 0x100, s60                                  // 000000003254: 803E3CFF 00000100
	s_cmp_lt_u32 s62, s61                                      // 00000000325C: BF0A3D3E
	s_cselect_b32 s66, s66, 0                                  // 000000003260: 85428042
	s_cselect_b32 s68, s68, 0                                  // 000000003264: 85448044
	s_add_u32 s12, s12, s66                                    // 000000003268: 800C420C
	s_addc_u32 s13, 0, s13                                     // 00000000326C: 820D0D80
	s_sub_u32 s14, s14, s66                                    // 000000003270: 808E420E
	s_add_u32 s20, s20, s68                                    // 000000003274: 80144414
	s_addc_u32 s21, 0, s21                                     // 000000003278: 82151580
	s_sub_u32 s22, s22, s68                                    // 00000000327C: 80964416
	buffer_load_dwordx4 v[88:91], v186, s[16:19], 0 offen      // 000000003280: E05C1000 800458BA
	v_accvgpr_write_b32 a48, 0                                 // 000000003288: D3D94030 18000080
	v_accvgpr_write_b32 a49, 0                                 // 000000003290: D3D94031 18000080
	v_accvgpr_write_b32 a50, 0                                 // 000000003298: D3D94032 18000080
	v_accvgpr_write_b32 a51, 0                                 // 0000000032A0: D3D94033 18000080
	v_accvgpr_write_b32 a52, 0                                 // 0000000032A8: D3D94034 18000080
	v_accvgpr_write_b32 a53, 0                                 // 0000000032B0: D3D94035 18000080
	buffer_load_dwordx4 v[92:95], v187, s[16:19], 0 offen      // 0000000032B8: E05C1000 80045CBB
	v_accvgpr_write_b32 a54, 0                                 // 0000000032C0: D3D94036 18000080
	v_accvgpr_write_b32 a55, 0                                 // 0000000032C8: D3D94037 18000080
	v_accvgpr_write_b32 a56, 0                                 // 0000000032D0: D3D94038 18000080
	v_accvgpr_write_b32 a57, 0                                 // 0000000032D8: D3D94039 18000080
	v_accvgpr_write_b32 a58, 0                                 // 0000000032E0: D3D9403A 18000080
	v_accvgpr_write_b32 a59, 0                                 // 0000000032E8: D3D9403B 18000080
	buffer_load_dwordx4 v[96:99], v186, s[16:19], 0 offen offset:1024// 0000000032F0: E05C1400 800460BA
	v_accvgpr_write_b32 a60, 0                                 // 0000000032F8: D3D9403C 18000080
	v_accvgpr_write_b32 a61, 0                                 // 000000003300: D3D9403D 18000080
	v_accvgpr_write_b32 a62, 0                                 // 000000003308: D3D9403E 18000080
	v_accvgpr_write_b32 a63, 0                                 // 000000003310: D3D9403F 18000080
	v_accvgpr_write_b32 a64, 0                                 // 000000003318: D3D94040 18000080
	v_accvgpr_write_b32 a65, 0                                 // 000000003320: D3D94041 18000080
	buffer_load_dwordx4 v[100:103], v187, s[16:19], 0 offen offset:1024// 000000003328: E05C1400 800464BB
	v_accvgpr_write_b32 a66, 0                                 // 000000003330: D3D94042 18000080
	v_accvgpr_write_b32 a67, 0                                 // 000000003338: D3D94043 18000080
	v_accvgpr_write_b32 a68, 0                                 // 000000003340: D3D94044 18000080
	v_accvgpr_write_b32 a69, 0                                 // 000000003348: D3D94045 18000080
	v_accvgpr_write_b32 a70, 0                                 // 000000003350: D3D94046 18000080
	v_accvgpr_write_b32 a71, 0                                 // 000000003358: D3D94047 18000080
	buffer_load_dword v173, v197, s[24:27], 0 offen            // 000000003360: E0501000 8006ADC5
	v_accvgpr_write_b32 a72, 0                                 // 000000003368: D3D94048 18000080
	v_accvgpr_write_b32 a73, 0                                 // 000000003370: D3D94049 18000080
	v_accvgpr_write_b32 a74, 0                                 // 000000003378: D3D9404A 18000080
	v_accvgpr_write_b32 a75, 0                                 // 000000003380: D3D9404B 18000080
	v_accvgpr_write_b32 a76, 0                                 // 000000003388: D3D9404C 18000080
	v_accvgpr_write_b32 a77, 0                                 // 000000003390: D3D9404D 18000080
	buffer_load_dwordx4 v[104:107], v188, s[16:19], 0 offen    // 000000003398: E05C1000 800468BC
	v_accvgpr_write_b32 a78, 0                                 // 0000000033A0: D3D9404E 18000080
	v_accvgpr_write_b32 a79, 0                                 // 0000000033A8: D3D9404F 18000080
	v_accvgpr_write_b32 a80, 0                                 // 0000000033B0: D3D94050 18000080
	v_accvgpr_write_b32 a81, 0                                 // 0000000033B8: D3D94051 18000080
	v_accvgpr_write_b32 a82, 0                                 // 0000000033C0: D3D94052 18000080
	v_accvgpr_write_b32 a83, 0                                 // 0000000033C8: D3D94053 18000080
	buffer_load_dwordx4 v[108:111], v189, s[16:19], 0 offen    // 0000000033D0: E05C1000 80046CBD
	v_accvgpr_write_b32 a84, 0                                 // 0000000033D8: D3D94054 18000080
	v_accvgpr_write_b32 a85, 0                                 // 0000000033E0: D3D94055 18000080
	v_accvgpr_write_b32 a86, 0                                 // 0000000033E8: D3D94056 18000080
	v_accvgpr_write_b32 a87, 0                                 // 0000000033F0: D3D94057 18000080
	v_accvgpr_write_b32 a88, 0                                 // 0000000033F8: D3D94058 18000080
	v_accvgpr_write_b32 a89, 0                                 // 000000003400: D3D94059 18000080
	buffer_load_dwordx4 v[112:115], v188, s[16:19], 0 offen offset:1024// 000000003408: E05C1400 800470BC
	v_accvgpr_write_b32 a90, 0                                 // 000000003410: D3D9405A 18000080
	v_accvgpr_write_b32 a91, 0                                 // 000000003418: D3D9405B 18000080
	v_accvgpr_write_b32 a92, 0                                 // 000000003420: D3D9405C 18000080
	v_accvgpr_write_b32 a93, 0                                 // 000000003428: D3D9405D 18000080
	v_accvgpr_write_b32 a94, 0                                 // 000000003430: D3D9405E 18000080
	v_accvgpr_write_b32 a95, 0                                 // 000000003438: D3D9405F 18000080
	buffer_load_dwordx4 v[116:119], v189, s[16:19], 0 offen offset:1024// 000000003440: E05C1400 800474BD
	v_accvgpr_write_b32 a96, 0                                 // 000000003448: D3D94060 18000080
	v_accvgpr_write_b32 a97, 0                                 // 000000003450: D3D94061 18000080
	v_accvgpr_write_b32 a98, 0                                 // 000000003458: D3D94062 18000080
	v_accvgpr_write_b32 a99, 0                                 // 000000003460: D3D94063 18000080
	v_accvgpr_write_b32 a100, 0                                // 000000003468: D3D94064 18000080
	v_accvgpr_write_b32 a101, 0                                // 000000003470: D3D94065 18000080
	buffer_load_dword v174, v198, s[24:27], 0 offen            // 000000003478: E0501000 8006AEC6
	v_accvgpr_write_b32 a102, 0                                // 000000003480: D3D94066 18000080
	v_accvgpr_write_b32 a103, 0                                // 000000003488: D3D94067 18000080
	v_accvgpr_write_b32 a104, 0                                // 000000003490: D3D94068 18000080
	v_accvgpr_write_b32 a105, 0                                // 000000003498: D3D94069 18000080
	v_accvgpr_write_b32 a106, 0                                // 0000000034A0: D3D9406A 18000080
	v_accvgpr_write_b32 a107, 0                                // 0000000034A8: D3D9406B 18000080
	v_accvgpr_write_b32 a108, 0                                // 0000000034B0: D3D9406C 18000080
	v_accvgpr_write_b32 a109, 0                                // 0000000034B8: D3D9406D 18000080
	v_accvgpr_write_b32 a110, 0                                // 0000000034C0: D3D9406E 18000080
	v_accvgpr_write_b32 a111, 0                                // 0000000034C8: D3D9406F 18000080
	v_accvgpr_write_b32 a112, 0                                // 0000000034D0: D3D94070 18000080
	v_accvgpr_write_b32 a113, 0                                // 0000000034D8: D3D94071 18000080
	v_accvgpr_write_b32 a114, 0                                // 0000000034E0: D3D94072 18000080
	v_accvgpr_write_b32 a115, 0                                // 0000000034E8: D3D94073 18000080
	v_accvgpr_write_b32 a116, 0                                // 0000000034F0: D3D94074 18000080
	v_accvgpr_write_b32 a117, 0                                // 0000000034F8: D3D94075 18000080
	v_accvgpr_write_b32 a118, 0                                // 000000003500: D3D94076 18000080
	v_accvgpr_write_b32 a119, 0                                // 000000003508: D3D94077 18000080
	v_accvgpr_write_b32 a120, 0                                // 000000003510: D3D94078 18000080
	v_accvgpr_write_b32 a121, 0                                // 000000003518: D3D94079 18000080
	v_accvgpr_write_b32 a122, 0                                // 000000003520: D3D9407A 18000080
	v_accvgpr_write_b32 a123, 0                                // 000000003528: D3D9407B 18000080
	v_accvgpr_write_b32 a124, 0                                // 000000003530: D3D9407C 18000080
	v_accvgpr_write_b32 a125, 0                                // 000000003538: D3D9407D 18000080
	v_accvgpr_write_b32 a126, 0                                // 000000003540: D3D9407E 18000080
	v_accvgpr_write_b32 a127, 0                                // 000000003548: D3D9407F 18000080
	v_accvgpr_write_b32 a128, 0                                // 000000003550: D3D94080 18000080
	v_accvgpr_write_b32 a129, 0                                // 000000003558: D3D94081 18000080
	v_accvgpr_write_b32 a130, 0                                // 000000003560: D3D94082 18000080
	v_accvgpr_write_b32 a131, 0                                // 000000003568: D3D94083 18000080
	v_accvgpr_write_b32 a132, 0                                // 000000003570: D3D94084 18000080
	v_accvgpr_write_b32 a133, 0                                // 000000003578: D3D94085 18000080
	v_accvgpr_write_b32 a134, 0                                // 000000003580: D3D94086 18000080
	v_accvgpr_write_b32 a135, 0                                // 000000003588: D3D94087 18000080
	v_accvgpr_write_b32 a136, 0                                // 000000003590: D3D94088 18000080
	v_accvgpr_write_b32 a137, 0                                // 000000003598: D3D94089 18000080
	v_accvgpr_write_b32 a138, 0                                // 0000000035A0: D3D9408A 18000080
	v_accvgpr_write_b32 a139, 0                                // 0000000035A8: D3D9408B 18000080
	v_accvgpr_write_b32 a140, 0                                // 0000000035B0: D3D9408C 18000080
	v_accvgpr_write_b32 a141, 0                                // 0000000035B8: D3D9408D 18000080
	v_accvgpr_write_b32 a142, 0                                // 0000000035C0: D3D9408E 18000080
	v_accvgpr_write_b32 a143, 0                                // 0000000035C8: D3D9408F 18000080
	v_accvgpr_write_b32 a144, 0                                // 0000000035D0: D3D94090 18000080
	v_accvgpr_write_b32 a145, 0                                // 0000000035D8: D3D94091 18000080
	v_accvgpr_write_b32 a146, 0                                // 0000000035E0: D3D94092 18000080
	v_accvgpr_write_b32 a147, 0                                // 0000000035E8: D3D94093 18000080
	v_accvgpr_write_b32 a148, 0                                // 0000000035F0: D3D94094 18000080
	v_accvgpr_write_b32 a149, 0                                // 0000000035F8: D3D94095 18000080
	v_accvgpr_write_b32 a150, 0                                // 000000003600: D3D94096 18000080
	v_accvgpr_write_b32 a151, 0                                // 000000003608: D3D94097 18000080
	v_accvgpr_write_b32 a152, 0                                // 000000003610: D3D94098 18000080
	v_accvgpr_write_b32 a153, 0                                // 000000003618: D3D94099 18000080
	v_accvgpr_write_b32 a154, 0                                // 000000003620: D3D9409A 18000080
	v_accvgpr_write_b32 a155, 0                                // 000000003628: D3D9409B 18000080
	v_accvgpr_write_b32 a156, 0                                // 000000003630: D3D9409C 18000080
	v_accvgpr_write_b32 a157, 0                                // 000000003638: D3D9409D 18000080
	v_accvgpr_write_b32 a158, 0                                // 000000003640: D3D9409E 18000080
	v_accvgpr_write_b32 a159, 0                                // 000000003648: D3D9409F 18000080
	v_accvgpr_write_b32 a160, 0                                // 000000003650: D3D940A0 18000080
	v_accvgpr_write_b32 a161, 0                                // 000000003658: D3D940A1 18000080
	v_accvgpr_write_b32 a162, 0                                // 000000003660: D3D940A2 18000080
	v_accvgpr_write_b32 a163, 0                                // 000000003668: D3D940A3 18000080
	v_accvgpr_write_b32 a164, 0                                // 000000003670: D3D940A4 18000080
	v_accvgpr_write_b32 a165, 0                                // 000000003678: D3D940A5 18000080
	v_accvgpr_write_b32 a166, 0                                // 000000003680: D3D940A6 18000080
	v_accvgpr_write_b32 a167, 0                                // 000000003688: D3D940A7 18000080
	v_accvgpr_write_b32 a168, 0                                // 000000003690: D3D940A8 18000080
	v_accvgpr_write_b32 a169, 0                                // 000000003698: D3D940A9 18000080
	v_accvgpr_write_b32 a170, 0                                // 0000000036A0: D3D940AA 18000080
	v_accvgpr_write_b32 a171, 0                                // 0000000036A8: D3D940AB 18000080
	v_accvgpr_write_b32 a172, 0                                // 0000000036B0: D3D940AC 18000080
	v_accvgpr_write_b32 a173, 0                                // 0000000036B8: D3D940AD 18000080
	v_accvgpr_write_b32 a174, 0                                // 0000000036C0: D3D940AE 18000080
	v_accvgpr_write_b32 a175, 0                                // 0000000036C8: D3D940AF 18000080
	v_accvgpr_write_b32 a176, 0                                // 0000000036D0: D3D940B0 18000080
	v_accvgpr_write_b32 a177, 0                                // 0000000036D8: D3D940B1 18000080
	v_accvgpr_write_b32 a178, 0                                // 0000000036E0: D3D940B2 18000080
	v_accvgpr_write_b32 a179, 0                                // 0000000036E8: D3D940B3 18000080
	v_accvgpr_write_b32 a180, 0                                // 0000000036F0: D3D940B4 18000080
	v_accvgpr_write_b32 a181, 0                                // 0000000036F8: D3D940B5 18000080
	v_accvgpr_write_b32 a182, 0                                // 000000003700: D3D940B6 18000080
	v_accvgpr_write_b32 a183, 0                                // 000000003708: D3D940B7 18000080
	v_accvgpr_write_b32 a184, 0                                // 000000003710: D3D940B8 18000080
	v_accvgpr_write_b32 a185, 0                                // 000000003718: D3D940B9 18000080
	v_accvgpr_write_b32 a186, 0                                // 000000003720: D3D940BA 18000080
	v_accvgpr_write_b32 a187, 0                                // 000000003728: D3D940BB 18000080
	v_accvgpr_write_b32 a188, 0                                // 000000003730: D3D940BC 18000080
	v_accvgpr_write_b32 a189, 0                                // 000000003738: D3D940BD 18000080
	v_accvgpr_write_b32 a190, 0                                // 000000003740: D3D940BE 18000080
	v_accvgpr_write_b32 a191, 0                                // 000000003748: D3D940BF 18000080
	s_waitcnt vmcnt(15)                                        // 000000003750: BF8C0F7F
	s_barrier                                                  // 000000003754: BF8A0000
	ds_read_b128 v[8:11], v180                                 // 000000003758: D9FE0000 080000B4
	ds_read_b128 v[16:19], v180 offset:64                      // 000000003760: D9FE0040 100000B4
	ds_read_b128 v[12:15], v180 offset:512                     // 000000003768: D9FE0200 0C0000B4
	ds_read_b128 v[20:23], v180 offset:576                     // 000000003770: D9FE0240 140000B4
	ds_read_b32 v168, v183                                     // 000000003778: D86C0000 A80000B7
	ds_read_b128 v[24:27], v180 offset:4224                    // 000000003780: D9FE1080 180000B4
	ds_read_b128 v[32:35], v180 offset:4288                    // 000000003788: D9FE10C0 200000B4
	ds_read_b128 v[28:31], v180 offset:4736                    // 000000003790: D9FE1280 1C0000B4
	ds_read_b128 v[36:39], v180 offset:4800                    // 000000003798: D9FE12C0 240000B4
	ds_read_b32 v169, v183 offset:256                          // 0000000037A0: D86C0100 A90000B7
	s_nop 0                                                    // 0000000037A8: BF800000
	s_nop 0                                                    // 0000000037AC: BF800000
	s_nop 0                                                    // 0000000037B0: BF800000
	s_nop 0                                                    // 0000000037B4: BF800000
	s_nop 0                                                    // 0000000037B8: BF800000
	s_lshl_b32 s36, s36, 1                                     // 0000000037BC: 8E248124
	s_mul_i32 s62, s48, 64                                     // 0000000037C0: 923EC030
	s_mul_hi_u32 s63, s36, s62                                 // 0000000037C4: 963F3E24
	s_add_u32 s5, s5, s63                                      // 0000000037C8: 80053F05
	s_mul_i32 s63, s36, s62                                    // 0000000037CC: 923F3E24
	s_add_u32 s4, s4, s63                                      // 0000000037D0: 80043F04
	s_addc_u32 s5, s5, 0                                       // 0000000037D4: 82058005
	s_mul_i32 s63, s47, 0x300                                  // 0000000037D8: 923FFF2F 00000300
	s_lshl_b32 s63, s63, 1                                     // 0000000037E0: 8E3F813F
	s_add_u32 s4, s4, s63                                      // 0000000037E4: 80043F04
	s_addc_u32 s5, s5, 0                                       // 0000000037E8: 82058005
	s_sub_i32 s62, s43, s62                                    // 0000000037EC: 81BE3E2B
	s_cmp_lt_u32 s62, 64                                       // 0000000037F0: BF0AC03E
	s_cselect_b32 s62, s62, 64                                 // 0000000037F4: 853EC03E
	s_mul_i32 s62, s36, s62                                    // 0000000037F8: 923E3E24
	s_sub_i32 s6, s62, s63                                     // 0000000037FC: 81863F3E
	s_mov_b32 s7, 0x20000                                      // 000000003800: BE8700FF 00020000
	s_mul_i32 s62, s46, 0xc0                                   // 000000003808: 923EFF2E 000000C0
	s_lshl_b32 s62, s62, 1                                     // 000000003810: 8E3E813E
	v_lshrrev_b32_e32 v4, 5, v0                                // 000000003814: 20080085
	v_mul_i32_i24_e32 v4, 16, v4                               // 000000003818: 0C080890
	v_lshrrev_b32_e32 v5, 4, v0                                // 00000000381C: 200A0084
	v_and_b32_e32 v5, 1, v5                                    // 000000003820: 260A0A81
	v_mul_i32_i24_e32 v5, 32, v5                               // 000000003824: 0C0A0AA0
	v_add_u32_e32 v4, v4, v5                                   // 000000003828: 68080B04
	v_and_b32_e32 v5, 15, v0                                   // 00000000382C: 260A008F
	v_mul_lo_u32 v202, s36, v5                                 // 000000003830: D28500CA 00020A24
	v_add_u32_e32 v202, s62, v202                              // 000000003838: 6995943E
	v_add_u32_e32 v202, v4, v202                               // 00000000383C: 69959504
	s_cmp_lt_i32 s46, 2                                        // 000000003840: BF04822E
	s_cbranch_scc0 label_070B                                  // 000000003844: BF8403F9

0000000000003848 <label_0312>:
	s_waitcnt vmcnt(10) lgkmcnt(5)                             // 000000003848: BF8C057A
	v_mfma_scale_f32_16x16x128_f8f6f4 a[0:3], v[72:75], v[8:11], a[0:3], v172, v168 op_sel_hi:[0,0,0] cbsz:4 blgp:4// 00000000384C: D3AC6000 000351AC D3AD8C00 84021148
	v_mfma_scale_f32_16x16x128_f8f6f4 a[4:7], v[72:75], v[12:15], a[4:7], v172, v168 op_sel_hi:[0,0,0] cbsz:4 blgp:4// 00000000385C: D3AC7000 000351AC D3AD8C04 84121948
	buffer_load_dwordx4 v[120:123], v190, s[16:19], 0 offen    // 00000000386C: E05C1000 800478BE
	v_mfma_scale_f32_16x16x128_f8f6f4 a[8:11], v[76:79], v[8:11], a[8:11], v172, v168 op_sel_hi:[0,0,0] cbsz:4 blgp:4// 000000003874: D3AC6800 000351AC D3AD8C08 8422114C
	v_mfma_scale_f32_16x16x128_f8f6f4 a[12:15], v[76:79], v[12:15], a[12:15], v172, v168 op_sel_hi:[0,0,0] cbsz:4 blgp:4// 000000003884: D3AC7800 000351AC D3AD8C0C 8432194C
	buffer_load_dwordx4 v[124:127], v191, s[16:19], 0 offen    // 000000003894: E05C1000 80047CBF
	v_mfma_scale_f32_16x16x128_f8f6f4 a[0:3], v[80:83], v[16:19], a[0:3], v172, v168 op_sel_hi:[0,0,0] cbsz:4 blgp:4// 00000000389C: D3AC6000 180351AC D3AD8C00 84022150
	v_mfma_scale_f32_16x16x128_f8f6f4 a[4:7], v[80:83], v[20:23], a[4:7], v172, v168 op_sel_hi:[0,0,0] cbsz:4 blgp:4// 0000000038AC: D3AC7000 180351AC D3AD8C04 84122950
	buffer_load_dwordx4 v[128:131], v190, s[16:19], 0 offen offset:1024// 0000000038BC: E05C1400 800480BE
	v_mfma_scale_f32_16x16x128_f8f6f4 a[8:11], v[84:87], v[16:19], a[8:11], v172, v168 op_sel_hi:[0,0,0] cbsz:4 blgp:4// 0000000038C4: D3AC6800 180351AC D3AD8C08 84222154
	v_mfma_scale_f32_16x16x128_f8f6f4 a[12:15], v[84:87], v[20:23], a[12:15], v172, v168 op_sel_hi:[0,0,0] cbsz:4 blgp:4// 0000000038D4: D3AC7800 180351AC D3AD8C0C 84322954
	buffer_load_dwordx4 v[132:135], v191, s[16:19], 0 offen offset:1024// 0000000038E4: E05C1400 800484BF
	s_waitcnt lgkmcnt(0)                                       // 0000000038EC: BF8CC07F
	v_mfma_scale_f32_16x16x128_f8f6f4 a[96:99], v[72:75], v[24:27], a[96:99], v172, v169 op_sel_hi:[0,0,0] cbsz:4 blgp:4// 0000000038F0: D3AC6000 000353AC D3AD8C60 85823148
	v_mfma_scale_f32_16x16x128_f8f6f4 a[100:103], v[72:75], v[28:31], a[100:103], v172, v169 op_sel_hi:[0,0,0] cbsz:4 blgp:4// 000000003900: D3AC7000 000353AC D3AD8C64 85923948
	buffer_load_dword v175, v199, s[24:27], 0 offen            // 000000003910: E0501000 8006AFC7
	v_mfma_scale_f32_16x16x128_f8f6f4 a[104:107], v[76:79], v[24:27], a[104:107], v172, v169 op_sel_hi:[0,0,0] cbsz:4 blgp:4// 000000003918: D3AC6800 000353AC D3AD8C68 85A2314C
	v_mfma_scale_f32_16x16x128_f8f6f4 a[108:111], v[76:79], v[28:31], a[108:111], v172, v169 op_sel_hi:[0,0,0] cbsz:4 blgp:4// 000000003928: D3AC7800 000353AC D3AD8C6C 85B2394C
	v_mfma_scale_f32_16x16x128_f8f6f4 a[96:99], v[80:83], v[32:35], a[96:99], v172, v169 op_sel_hi:[0,0,0] cbsz:4 blgp:4// 000000003938: D3AC6000 180353AC D3AD8C60 85824150
	v_mfma_scale_f32_16x16x128_f8f6f4 a[100:103], v[80:83], v[36:39], a[100:103], v172, v169 op_sel_hi:[0,0,0] cbsz:4 blgp:4// 000000003948: D3AC7000 180353AC D3AD8C64 85924950
	v_mfma_scale_f32_16x16x128_f8f6f4 a[104:107], v[84:87], v[32:35], a[104:107], v172, v169 op_sel_hi:[0,0,0] cbsz:4 blgp:4// 000000003958: D3AC6800 180353AC D3AD8C68 85A24154
	v_mfma_scale_f32_16x16x128_f8f6f4 a[108:111], v[84:87], v[36:39], a[108:111], v172, v169 op_sel_hi:[0,0,0] cbsz:4 blgp:4// 000000003968: D3AC7800 180353AC D3AD8C6C 85B24954
	s_waitcnt vmcnt(10)                                        // 000000003978: BF8C0F7A
	v_mfma_scale_f32_16x16x128_f8f6f4 a[16:19], v[88:91], v[8:11], a[16:19], v173, v168 op_sel_hi:[0,0,0] cbsz:4 blgp:4// 00000000397C: D3AC6000 000351AD D3AD8C10 84421158
	v_mfma_scale_f32_16x16x128_f8f6f4 a[20:23], v[88:91], v[12:15], a[20:23], v173, v168 op_sel_hi:[0,0,0] cbsz:4 blgp:4// 00000000398C: D3AC7000 000351AD D3AD8C14 84521958
	buffer_load_dwordx4 v[136:139], v192, s[16:19], 0 offen    // 00000000399C: E05C1000 800488C0
	v_mfma_scale_f32_16x16x128_f8f6f4 a[24:27], v[92:95], v[8:11], a[24:27], v173, v168 op_sel_hi:[0,0,0] cbsz:4 blgp:4// 0000000039A4: D3AC6800 000351AD D3AD8C18 8462115C
	v_mfma_scale_f32_16x16x128_f8f6f4 a[28:31], v[92:95], v[12:15], a[28:31], v173, v168 op_sel_hi:[0,0,0] cbsz:4 blgp:4// 0000000039B4: D3AC7800 000351AD D3AD8C1C 8472195C
	buffer_load_dwordx4 v[140:143], v193, s[16:19], 0 offen    // 0000000039C4: E05C1000 80048CC1
	v_mfma_scale_f32_16x16x128_f8f6f4 a[16:19], v[96:99], v[16:19], a[16:19], v173, v168 op_sel_hi:[0,0,0] cbsz:4 blgp:4// 0000000039CC: D3AC6000 180351AD D3AD8C10 84422160
	v_mfma_scale_f32_16x16x128_f8f6f4 a[20:23], v[96:99], v[20:23], a[20:23], v173, v168 op_sel_hi:[0,0,0] cbsz:4 blgp:4// 0000000039DC: D3AC7000 180351AD D3AD8C14 84522960
	buffer_load_dwordx4 v[144:147], v192, s[16:19], 0 offen offset:1024// 0000000039EC: E05C1400 800490C0
	v_mfma_scale_f32_16x16x128_f8f6f4 a[24:27], v[100:103], v[16:19], a[24:27], v173, v168 op_sel_hi:[0,0,0] cbsz:4 blgp:4// 0000000039F4: D3AC6800 180351AD D3AD8C18 84622164
	v_mfma_scale_f32_16x16x128_f8f6f4 a[28:31], v[100:103], v[20:23], a[28:31], v173, v168 op_sel_hi:[0,0,0] cbsz:4 blgp:4// 000000003A04: D3AC7800 180351AD D3AD8C1C 84722964
	buffer_load_dwordx4 v[148:151], v193, s[16:19], 0 offen offset:1024// 000000003A14: E05C1400 800494C1
	v_mfma_scale_f32_16x16x128_f8f6f4 a[112:115], v[88:91], v[24:27], a[112:115], v173, v169 op_sel_hi:[0,0,0] cbsz:4 blgp:4// 000000003A1C: D3AC6000 000353AD D3AD8C70 85C23158
	v_mfma_scale_f32_16x16x128_f8f6f4 a[116:119], v[88:91], v[28:31], a[116:119], v173, v169 op_sel_hi:[0,0,0] cbsz:4 blgp:4// 000000003A2C: D3AC7000 000353AD D3AD8C74 85D23958
	buffer_load_dword v176, v200, s[24:27], 0 offen            // 000000003A3C: E0501000 8006B0C8
	v_mfma_scale_f32_16x16x128_f8f6f4 a[120:123], v[92:95], v[24:27], a[120:123], v173, v169 op_sel_hi:[0,0,0] cbsz:4 blgp:4// 000000003A44: D3AC6800 000353AD D3AD8C78 85E2315C
	v_mfma_scale_f32_16x16x128_f8f6f4 a[124:127], v[92:95], v[28:31], a[124:127], v173, v169 op_sel_hi:[0,0,0] cbsz:4 blgp:4// 000000003A54: D3AC7800 000353AD D3AD8C7C 85F2395C
	v_mfma_scale_f32_16x16x128_f8f6f4 a[112:115], v[96:99], v[32:35], a[112:115], v173, v169 op_sel_hi:[0,0,0] cbsz:4 blgp:4// 000000003A64: D3AC6000 180353AD D3AD8C70 85C24160
	v_mfma_scale_f32_16x16x128_f8f6f4 a[116:119], v[96:99], v[36:39], a[116:119], v173, v169 op_sel_hi:[0,0,0] cbsz:4 blgp:4// 000000003A74: D3AC7000 180353AD D3AD8C74 85D24960
	v_mfma_scale_f32_16x16x128_f8f6f4 a[120:123], v[100:103], v[32:35], a[120:123], v173, v169 op_sel_hi:[0,0,0] cbsz:4 blgp:4// 000000003A84: D3AC6800 180353AD D3AD8C78 85E24164
	v_mfma_scale_f32_16x16x128_f8f6f4 a[124:127], v[100:103], v[36:39], a[124:127], v173, v169 op_sel_hi:[0,0,0] cbsz:4 blgp:4// 000000003A94: D3AC7800 180353AD D3AD8C7C 85F24964
	s_waitcnt vmcnt(10)                                        // 000000003AA4: BF8C0F7A
	v_mfma_scale_f32_16x16x128_f8f6f4 a[32:35], v[104:107], v[8:11], a[32:35], v174, v168 op_sel_hi:[0,0,0] cbsz:4 blgp:4// 000000003AA8: D3AC6000 000351AE D3AD8C20 84821168
	s_add_u32 s63, 0x100, s60                                  // 000000003AB8: 803F3CFF 00000100
	s_cmp_lt_u32 s63, s61                                      // 000000003AC0: BF0A3D3F
	v_mfma_scale_f32_16x16x128_f8f6f4 a[36:39], v[104:107], v[12:15], a[36:39], v174, v168 op_sel_hi:[0,0,0] cbsz:4 blgp:4// 000000003AC4: D3AC7000 000351AE D3AD8C24 84921968
	s_cselect_b32 s67, s67, 0                                  // 000000003AD4: 85438043
	buffer_load_dwordx4 v[152:155], v194, s[16:19], 0 offen    // 000000003AD8: E05C1000 800498C2
	v_mfma_scale_f32_16x16x128_f8f6f4 a[40:43], v[108:111], v[8:11], a[40:43], v174, v168 op_sel_hi:[0,0,0] cbsz:4 blgp:4// 000000003AE0: D3AC6800 000351AE D3AD8C28 84A2116C
	s_cselect_b32 s69, s69, 0                                  // 000000003AF0: 85458045
	v_mfma_scale_f32_16x16x128_f8f6f4 a[44:47], v[108:111], v[12:15], a[44:47], v174, v168 op_sel_hi:[0,0,0] cbsz:4 blgp:4// 000000003AF4: D3AC7800 000351AE D3AD8C2C 84B2196C
	buffer_load_dwordx4 v[156:159], v195, s[16:19], 0 offen    // 000000003B04: E05C1000 80049CC3
	v_mfma_scale_f32_16x16x128_f8f6f4 a[32:35], v[112:115], v[16:19], a[32:35], v174, v168 op_sel_hi:[0,0,0] cbsz:4 blgp:4// 000000003B0C: D3AC6000 180351AE D3AD8C20 84822170
	v_mfma_scale_f32_16x16x128_f8f6f4 a[36:39], v[112:115], v[20:23], a[36:39], v174, v168 op_sel_hi:[0,0,0] cbsz:4 blgp:4// 000000003B1C: D3AC7000 180351AE D3AD8C24 84922970
	buffer_load_dwordx4 v[160:163], v194, s[16:19], 0 offen offset:1024// 000000003B2C: E05C1400 8004A0C2
	v_mfma_scale_f32_16x16x128_f8f6f4 a[40:43], v[116:119], v[16:19], a[40:43], v174, v168 op_sel_hi:[0,0,0] cbsz:4 blgp:4// 000000003B34: D3AC6800 180351AE D3AD8C28 84A22174
	v_mfma_scale_f32_16x16x128_f8f6f4 a[44:47], v[116:119], v[20:23], a[44:47], v174, v168 op_sel_hi:[0,0,0] cbsz:4 blgp:4// 000000003B44: D3AC7800 180351AE D3AD8C2C 84B22974
	buffer_load_dwordx4 v[164:167], v195, s[16:19], 0 offen offset:1024// 000000003B54: E05C1400 8004A4C3
	v_mfma_scale_f32_16x16x128_f8f6f4 a[128:131], v[104:107], v[24:27], a[128:131], v174, v169 op_sel_hi:[0,0,0] cbsz:4 blgp:4// 000000003B5C: D3AC6000 000353AE D3AD8C80 86023168
	v_mfma_scale_f32_16x16x128_f8f6f4 a[132:135], v[104:107], v[28:31], a[132:135], v174, v169 op_sel_hi:[0,0,0] cbsz:4 blgp:4// 000000003B6C: D3AC7000 000353AE D3AD8C84 86123968
	buffer_load_dword v177, v201, s[24:27], 0 offen            // 000000003B7C: E0501000 8006B1C9
	v_mfma_scale_f32_16x16x128_f8f6f4 a[136:139], v[108:111], v[24:27], a[136:139], v174, v169 op_sel_hi:[0,0,0] cbsz:4 blgp:4// 000000003B84: D3AC6800 000353AE D3AD8C88 8622316C
	s_add_u32 s16, s16, s67                                    // 000000003B94: 80104310
	s_addc_u32 s17, 0, s17                                     // 000000003B98: 82111180
	v_mfma_scale_f32_16x16x128_f8f6f4 a[140:143], v[108:111], v[28:31], a[140:143], v174, v169 op_sel_hi:[0,0,0] cbsz:4 blgp:4// 000000003B9C: D3AC7800 000353AE D3AD8C8C 8632396C
	s_sub_u32 s18, s18, s67                                    // 000000003BAC: 80924312
	s_add_u32 s24, s24, s69                                    // 000000003BB0: 80184518
	v_mfma_scale_f32_16x16x128_f8f6f4 a[128:131], v[112:115], v[32:35], a[128:131], v174, v169 op_sel_hi:[0,0,0] cbsz:4 blgp:4// 000000003BB4: D3AC6000 180353AE D3AD8C80 86024170
	s_addc_u32 s25, 0, s25                                     // 000000003BC4: 82191980
	s_sub_u32 s26, s26, s69                                    // 000000003BC8: 809A451A
	v_mfma_scale_f32_16x16x128_f8f6f4 a[132:135], v[112:115], v[36:39], a[132:135], v174, v169 op_sel_hi:[0,0,0] cbsz:4 blgp:4// 000000003BCC: D3AC7000 180353AE D3AD8C84 86124970
	s_add_u32 m0, 0x400, s65                                   // 000000003BDC: 807C41FF 00000400
	buffer_load_dword v182, s[20:23], 0 offen lds              // 000000003BE4: E0511000 800500B6
	v_mfma_scale_f32_16x16x128_f8f6f4 a[136:139], v[116:119], v[32:35], a[136:139], v174, v169 op_sel_hi:[0,0,0] cbsz:4 blgp:4// 000000003BEC: D3AC6800 180353AE D3AD8C88 86224174
	v_mfma_scale_f32_16x16x128_f8f6f4 a[140:143], v[116:119], v[36:39], a[140:143], v174, v169 op_sel_hi:[0,0,0] cbsz:4 blgp:4// 000000003BFC: D3AC7800 180353AE D3AD8C8C 86324974
	s_waitcnt vmcnt(11)                                        // 000000003C0C: BF8C0F7B
	v_mfma_scale_f32_16x16x128_f8f6f4 a[48:51], v[120:123], v[8:11], a[48:51], v175, v168 op_sel_hi:[0,0,0] cbsz:4 blgp:4// 000000003C10: D3AC6000 000351AF D3AD8C30 84C21178
	v_mfma_scale_f32_16x16x128_f8f6f4 a[52:55], v[120:123], v[12:15], a[52:55], v175, v168 op_sel_hi:[0,0,0] cbsz:4 blgp:4// 000000003C20: D3AC7000 000351AF D3AD8C34 84D21978
	s_add_u32 m0, 0x2100, s64                                  // 000000003C30: 807C40FF 00002100
	buffer_load_dwordx4 v178, s[12:15], 0 offen lds            // 000000003C38: E05D1000 800300B2
	v_mfma_scale_f32_16x16x128_f8f6f4 a[56:59], v[124:127], v[8:11], a[56:59], v175, v168 op_sel_hi:[0,0,0] cbsz:4 blgp:4// 000000003C40: D3AC6800 000351AF D3AD8C38 84E2117C
	v_mfma_scale_f32_16x16x128_f8f6f4 a[60:63], v[124:127], v[12:15], a[60:63], v175, v168 op_sel_hi:[0,0,0] cbsz:4 blgp:4// 000000003C50: D3AC7800 000351AF D3AD8C3C 84F2197C
	s_add_u32 m0, 0x3180, s64                                  // 000000003C60: 807C40FF 00003180
	buffer_load_dwordx4 v179, s[12:15], 0 offen lds            // 000000003C68: E05D1000 800300B3
	v_mfma_scale_f32_16x16x128_f8f6f4 a[48:51], v[128:131], v[16:19], a[48:51], v175, v168 op_sel_hi:[0,0,0] cbsz:4 blgp:4// 000000003C70: D3AC6000 180351AF D3AD8C30 84C22180
	s_add_u32 s62, 0x200, s60                                  // 000000003C80: 803E3CFF 00000200
	s_cmp_lt_u32 s62, s61                                      // 000000003C88: BF0A3D3E
	v_mfma_scale_f32_16x16x128_f8f6f4 a[52:55], v[128:131], v[20:23], a[52:55], v175, v168 op_sel_hi:[0,0,0] cbsz:4 blgp:4// 000000003C8C: D3AC7000 180351AF D3AD8C34 84D22980
	s_cselect_b32 s66, s66, 0                                  // 000000003C9C: 85428042
	buffer_load_dwordx4 v[72:75], v184, s[16:19], 0 offen      // 000000003CA0: E05C1000 800448B8
	v_mfma_scale_f32_16x16x128_f8f6f4 a[56:59], v[132:135], v[16:19], a[56:59], v175, v168 op_sel_hi:[0,0,0] cbsz:4 blgp:4// 000000003CA8: D3AC6800 180351AF D3AD8C38 84E22184
	s_cselect_b32 s68, s68, 0                                  // 000000003CB8: 85448044
	s_add_u32 s12, s12, s66                                    // 000000003CBC: 800C420C
	v_mfma_scale_f32_16x16x128_f8f6f4 a[60:63], v[132:135], v[20:23], a[60:63], v175, v168 op_sel_hi:[0,0,0] cbsz:4 blgp:4// 000000003CC0: D3AC7800 180351AF D3AD8C3C 84F22984
	s_addc_u32 s13, 0, s13                                     // 000000003CD0: 820D0D80
	buffer_load_dwordx4 v[76:79], v185, s[16:19], 0 offen      // 000000003CD4: E05C1000 80044CB9
	v_mfma_scale_f32_16x16x128_f8f6f4 a[144:147], v[120:123], v[24:27], a[144:147], v175, v169 op_sel_hi:[0,0,0] cbsz:4 blgp:4// 000000003CDC: D3AC6000 000353AF D3AD8C90 86423178
	s_sub_u32 s14, s14, s66                                    // 000000003CEC: 808E420E
	s_add_u32 s20, s20, s68                                    // 000000003CF0: 80144414
	v_mfma_scale_f32_16x16x128_f8f6f4 a[148:151], v[120:123], v[28:31], a[148:151], v175, v169 op_sel_hi:[0,0,0] cbsz:4 blgp:4// 000000003CF4: D3AC7000 000353AF D3AD8C94 86523978
	s_addc_u32 s21, 0, s21                                     // 000000003D04: 82151580
	buffer_load_dwordx4 v[80:83], v184, s[16:19], 0 offen offset:1024// 000000003D08: E05C1400 800450B8
	v_mfma_scale_f32_16x16x128_f8f6f4 a[152:155], v[124:127], v[24:27], a[152:155], v175, v169 op_sel_hi:[0,0,0] cbsz:4 blgp:4// 000000003D10: D3AC6800 000353AF D3AD8C98 8662317C
	s_sub_u32 s22, s22, s68                                    // 000000003D20: 80964416
	v_mfma_scale_f32_16x16x128_f8f6f4 a[156:159], v[124:127], v[28:31], a[156:159], v175, v169 op_sel_hi:[0,0,0] cbsz:4 blgp:4// 000000003D24: D3AC7800 000353AF D3AD8C9C 8672397C
	buffer_load_dwordx4 v[84:87], v185, s[16:19], 0 offen offset:1024// 000000003D34: E05C1400 800454B9
	v_mfma_scale_f32_16x16x128_f8f6f4 a[144:147], v[128:131], v[32:35], a[144:147], v175, v169 op_sel_hi:[0,0,0] cbsz:4 blgp:4// 000000003D3C: D3AC6000 180353AF D3AD8C90 86424180
	v_mfma_scale_f32_16x16x128_f8f6f4 a[148:151], v[128:131], v[36:39], a[148:151], v175, v169 op_sel_hi:[0,0,0] cbsz:4 blgp:4// 000000003D4C: D3AC7000 180353AF D3AD8C94 86524980
	buffer_load_dword v172, v196, s[24:27], 0 offen            // 000000003D5C: E0501000 8006ACC4
	v_mfma_scale_f32_16x16x128_f8f6f4 a[152:155], v[132:135], v[32:35], a[152:155], v175, v169 op_sel_hi:[0,0,0] cbsz:4 blgp:4// 000000003D64: D3AC6800 180353AF D3AD8C98 86624184
	v_mfma_scale_f32_16x16x128_f8f6f4 a[156:159], v[132:135], v[36:39], a[156:159], v175, v169 op_sel_hi:[0,0,0] cbsz:4 blgp:4// 000000003D74: D3AC7800 180353AF D3AD8C9C 86724984
	s_waitcnt vmcnt(13)                                        // 000000003D84: BF8C0F7D
	v_mfma_scale_f32_16x16x128_f8f6f4 a[64:67], v[136:139], v[8:11], a[64:67], v176, v168 op_sel_hi:[0,0,0] cbsz:4 blgp:4// 000000003D88: D3AC6000 000351B0 D3AD8C40 85021188
	v_mfma_scale_f32_16x16x128_f8f6f4 a[68:71], v[136:139], v[12:15], a[68:71], v176, v168 op_sel_hi:[0,0,0] cbsz:4 blgp:4// 000000003D98: D3AC5000 000351B0 D3AD8C44 85121988
	buffer_load_dwordx4 v[88:91], v186, s[16:19], 0 offen      // 000000003DA8: E05C1000 800458BA
	v_mfma_scale_f32_16x16x128_f8f6f4 a[72:75], v[140:143], v[8:11], a[72:75], v176, v168 op_sel_hi:[0,0,0] cbsz:4 blgp:4// 000000003DB0: D3AC6800 000351B0 D3AD8C48 8522118C
	v_mfma_scale_f32_16x16x128_f8f6f4 a[76:79], v[140:143], v[12:15], a[76:79], v176, v168 op_sel_hi:[0,0,0] cbsz:4 blgp:4// 000000003DC0: D3AC5800 000351B0 D3AD8C4C 8532198C
	buffer_load_dwordx4 v[92:95], v187, s[16:19], 0 offen      // 000000003DD0: E05C1000 80045CBB
	v_mfma_scale_f32_16x16x128_f8f6f4 a[64:67], v[144:147], v[16:19], a[64:67], v176, v168 op_sel_hi:[0,0,0] cbsz:4 blgp:4// 000000003DD8: D3AC6000 180351B0 D3AD8C40 85022190
	v_mfma_scale_f32_16x16x128_f8f6f4 a[68:71], v[144:147], v[20:23], a[68:71], v176, v168 op_sel_hi:[0,0,0] cbsz:4 blgp:4// 000000003DE8: D3AC7000 180351B0 D3AD8C44 85122990
	buffer_load_dwordx4 v[96:99], v186, s[16:19], 0 offen offset:1024// 000000003DF8: E05C1400 800460BA
	v_mfma_scale_f32_16x16x128_f8f6f4 a[72:75], v[148:151], v[16:19], a[72:75], v176, v168 op_sel_hi:[0,0,0] cbsz:4 blgp:4// 000000003E00: D3AC6800 180351B0 D3AD8C48 85222194
	v_mfma_scale_f32_16x16x128_f8f6f4 a[76:79], v[148:151], v[20:23], a[76:79], v176, v168 op_sel_hi:[0,0,0] cbsz:4 blgp:4// 000000003E10: D3AC5800 180351B0 D3AD8C4C 85322994
	buffer_load_dwordx4 v[100:103], v187, s[16:19], 0 offen offset:1024// 000000003E20: E05C1400 800464BB
	v_mfma_scale_f32_16x16x128_f8f6f4 a[160:163], v[136:139], v[24:27], a[160:163], v176, v169 op_sel_hi:[0,0,0] cbsz:4 blgp:4// 000000003E28: D3AC6000 000353B0 D3AD8CA0 86823188
	v_mfma_scale_f32_16x16x128_f8f6f4 a[164:167], v[136:139], v[28:31], a[164:167], v176, v169 op_sel_hi:[0,0,0] cbsz:4 blgp:4// 000000003E38: D3AC5000 000353B0 D3AD8CA4 86923988
	buffer_load_dword v173, v197, s[24:27], 0 offen            // 000000003E48: E0501000 8006ADC5
	v_mfma_scale_f32_16x16x128_f8f6f4 a[168:171], v[140:143], v[24:27], a[168:171], v176, v169 op_sel_hi:[0,0,0] cbsz:4 blgp:4// 000000003E50: D3AC6800 000353B0 D3AD8CA8 86A2318C
	v_mfma_scale_f32_16x16x128_f8f6f4 a[172:175], v[140:143], v[28:31], a[172:175], v176, v169 op_sel_hi:[0,0,0] cbsz:4 blgp:4// 000000003E60: D3AC7800 000353B0 D3AD8CAC 86B2398C
	v_mfma_scale_f32_16x16x128_f8f6f4 a[160:163], v[144:147], v[32:35], a[160:163], v176, v169 op_sel_hi:[0,0,0] cbsz:4 blgp:4// 000000003E70: D3AC6000 180353B0 D3AD8CA0 86824190
	v_mfma_scale_f32_16x16x128_f8f6f4 a[164:167], v[144:147], v[36:39], a[164:167], v176, v169 op_sel_hi:[0,0,0] cbsz:4 blgp:4// 000000003E80: D3AC7000 180353B0 D3AD8CA4 86924990
	v_mfma_scale_f32_16x16x128_f8f6f4 a[168:171], v[148:151], v[32:35], a[168:171], v176, v169 op_sel_hi:[0,0,0] cbsz:4 blgp:4// 000000003E90: D3AC6800 180353B0 D3AD8CA8 86A24194
	v_mfma_scale_f32_16x16x128_f8f6f4 a[172:175], v[148:151], v[36:39], a[172:175], v176, v169 op_sel_hi:[0,0,0] cbsz:4 blgp:4// 000000003EA0: D3AC5800 180353B0 D3AD8CAC 86B24994
	s_waitcnt vmcnt(10)                                        // 000000003EB0: BF8C0F7A
	s_barrier                                                  // 000000003EB4: BF8A0000
	v_mfma_scale_f32_16x16x128_f8f6f4 a[80:83], v[152:155], v[8:11], a[80:83], v177, v168 op_sel_hi:[0,0,0] cbsz:4 blgp:4// 000000003EB8: D3AC6000 000351B1 D3AD8C50 85421198
	s_addk_i32 s60, 0x100                                      // 000000003EC8: B73C0100
	ds_read_b128 v[40:43], v181                                // 000000003ECC: D9FE0000 280000B5
	v_mfma_scale_f32_16x16x128_f8f6f4 a[84:87], v[152:155], v[12:15], a[84:87], v177, v168 op_sel_hi:[0,0,0] cbsz:4 blgp:4// 000000003ED4: D3AC7000 000351B1 D3AD8C54 85521998
	s_cmp_lt_i32 s60, s61                                      // 000000003EE4: BF043D3C
	buffer_load_dwordx4 v[104:107], v188, s[16:19], 0 offen    // 000000003EE8: E05C1000 800468BC
	v_mfma_scale_f32_16x16x128_f8f6f4 a[88:91], v[156:159], v[8:11], a[88:91], v177, v168 op_sel_hi:[0,0,0] cbsz:4 blgp:4// 000000003EF0: D3AC6800 000351B1 D3AD8C58 8562119C
	ds_read_b128 v[48:51], v181 offset:64                      // 000000003F00: D9FE0040 300000B5
	v_mfma_scale_f32_16x16x128_f8f6f4 a[92:95], v[156:159], v[12:15], a[92:95], v177, v168 op_sel_hi:[0,0,0] cbsz:4 blgp:4// 000000003F08: D3AC7800 000351B1 D3AD8C5C 8572199C
	buffer_load_dwordx4 v[108:111], v189, s[16:19], 0 offen    // 000000003F18: E05C1000 80046CBD
	v_mfma_scale_f32_16x16x128_f8f6f4 a[80:83], v[160:163], v[16:19], a[80:83], v177, v168 op_sel_hi:[0,0,0] cbsz:4 blgp:4// 000000003F20: D3AC2000 180351B1 D3AD8C50 854221A0
	ds_read_b128 v[44:47], v181 offset:512                     // 000000003F30: D9FE0200 2C0000B5
	v_mfma_scale_f32_16x16x128_f8f6f4 a[84:87], v[160:163], v[20:23], a[84:87], v177, v168 op_sel_hi:[0,0,0] cbsz:4 blgp:4// 000000003F38: D3AC7000 180351B1 D3AD8C54 855229A0
	buffer_load_dwordx4 v[112:115], v188, s[16:19], 0 offen offset:1024// 000000003F48: E05C1400 800470BC
	v_mfma_scale_f32_16x16x128_f8f6f4 a[88:91], v[164:167], v[16:19], a[88:91], v177, v168 op_sel_hi:[0,0,0] cbsz:4 blgp:4// 000000003F50: D3AC2800 180351B1 D3AD8C58 856221A4
	ds_read_b128 v[52:55], v181 offset:576                     // 000000003F60: D9FE0240 340000B5
	v_mfma_scale_f32_16x16x128_f8f6f4 a[92:95], v[164:167], v[20:23], a[92:95], v177, v168 op_sel_hi:[0,0,0] cbsz:4 blgp:4// 000000003F68: D3AC7800 180351B1 D3AD8C5C 857229A4
	buffer_load_dwordx4 v[116:119], v189, s[16:19], 0 offen offset:1024// 000000003F78: E05C1400 800474BD
	ds_read_b32 v170, v183 offset:1024                         // 000000003F80: D86C0400 AA0000B7
	v_mfma_scale_f32_16x16x128_f8f6f4 a[176:179], v[152:155], v[24:27], a[176:179], v177, v169 op_sel_hi:[0,0,0] cbsz:4 blgp:4// 000000003F88: D3AC6000 000353B1 D3AD8CB0 86C23198
	ds_read_b128 v[56:59], v181 offset:4224                    // 000000003F98: D9FE1080 380000B5
	v_mfma_scale_f32_16x16x128_f8f6f4 a[180:183], v[152:155], v[28:31], a[180:183], v177, v169 op_sel_hi:[0,0,0] cbsz:4 blgp:4// 000000003FA0: D3AC7000 000353B1 D3AD8CB4 86D23998
	buffer_load_dword v174, v198, s[24:27], 0 offen            // 000000003FB0: E0501000 8006AEC6
	v_mfma_scale_f32_16x16x128_f8f6f4 a[184:187], v[156:159], v[24:27], a[184:187], v177, v169 op_sel_hi:[0,0,0] cbsz:4 blgp:4// 000000003FB8: D3AC4800 000353B1 D3AD8CB8 86E2319C
	ds_read_b128 v[64:67], v181 offset:4288                    // 000000003FC8: D9FE10C0 400000B5
	v_mfma_scale_f32_16x16x128_f8f6f4 a[188:191], v[156:159], v[28:31], a[188:191], v177, v169 op_sel_hi:[0,0,0] cbsz:4 blgp:4// 000000003FD0: D3AC7800 000353B1 D3AD8CBC 86F2399C
	v_mfma_scale_f32_16x16x128_f8f6f4 a[176:179], v[160:163], v[32:35], a[176:179], v177, v169 op_sel_hi:[0,0,0] cbsz:4 blgp:4// 000000003FE0: D3AC6000 180353B1 D3AD8CB0 86C241A0
	ds_read_b128 v[60:63], v181 offset:4736                    // 000000003FF0: D9FE1280 3C0000B5
	v_mfma_scale_f32_16x16x128_f8f6f4 a[180:183], v[160:163], v[36:39], a[180:183], v177, v169 op_sel_hi:[0,0,0] cbsz:4 blgp:4// 000000003FF8: D3AC7000 180353B1 D3AD8CB4 86D249A0
	v_mfma_scale_f32_16x16x128_f8f6f4 a[184:187], v[164:167], v[32:35], a[184:187], v177, v169 op_sel_hi:[0,0,0] cbsz:4 blgp:4// 000000004008: D3AC6800 180353B1 D3AD8CB8 86E241A4
	ds_read_b128 v[68:71], v181 offset:4800                    // 000000004018: D9FE12C0 440000B5
	v_mfma_scale_f32_16x16x128_f8f6f4 a[188:191], v[164:167], v[36:39], a[188:191], v177, v169 op_sel_hi:[0,0,0] cbsz:4 blgp:4// 000000004020: D3AC7800 180353B1 D3AD8CBC 86F249A4
	ds_read_b32 v171, v183 offset:1280                         // 000000004030: D86C0500 AB0000B7
	s_cbranch_scc0 label_0B04                                  // 000000004038: BF8405F5
	s_waitcnt vmcnt(10) lgkmcnt(5)                             // 00000000403C: BF8C057A
	v_mfma_scale_f32_16x16x128_f8f6f4 a[0:3], v[72:75], v[40:43], a[0:3], v172, v170 op_sel_hi:[0,0,0] cbsz:4 blgp:4// 000000004040: D3AC6000 000355AC D3AD8C00 84025148
	v_mfma_scale_f32_16x16x128_f8f6f4 a[4:7], v[72:75], v[44:47], a[4:7], v172, v170 op_sel_hi:[0,0,0] cbsz:4 blgp:4// 000000004050: D3AC7000 000355AC D3AD8C04 84125948
	buffer_load_dwordx4 v[120:123], v190, s[16:19], 0 offen    // 000000004060: E05C1000 800478BE
	v_mfma_scale_f32_16x16x128_f8f6f4 a[8:11], v[76:79], v[40:43], a[8:11], v172, v170 op_sel_hi:[0,0,0] cbsz:4 blgp:4// 000000004068: D3AC6800 000355AC D3AD8C08 8422514C
	v_mfma_scale_f32_16x16x128_f8f6f4 a[12:15], v[76:79], v[44:47], a[12:15], v172, v170 op_sel_hi:[0,0,0] cbsz:4 blgp:4// 000000004078: D3AC7800 000355AC D3AD8C0C 8432594C
	buffer_load_dwordx4 v[124:127], v191, s[16:19], 0 offen    // 000000004088: E05C1000 80047CBF
	v_mfma_scale_f32_16x16x128_f8f6f4 a[0:3], v[80:83], v[48:51], a[0:3], v172, v170 op_sel_hi:[0,0,0] cbsz:4 blgp:4// 000000004090: D3AC6000 180355AC D3AD8C00 84026150
	v_mfma_scale_f32_16x16x128_f8f6f4 a[4:7], v[80:83], v[52:55], a[4:7], v172, v170 op_sel_hi:[0,0,0] cbsz:4 blgp:4// 0000000040A0: D3AC7000 180355AC D3AD8C04 84126950
	buffer_load_dwordx4 v[128:131], v190, s[16:19], 0 offen offset:1024// 0000000040B0: E05C1400 800480BE
	v_mfma_scale_f32_16x16x128_f8f6f4 a[8:11], v[84:87], v[48:51], a[8:11], v172, v170 op_sel_hi:[0,0,0] cbsz:4 blgp:4// 0000000040B8: D3AC6800 180355AC D3AD8C08 84226154
	v_mfma_scale_f32_16x16x128_f8f6f4 a[12:15], v[84:87], v[52:55], a[12:15], v172, v170 op_sel_hi:[0,0,0] cbsz:4 blgp:4// 0000000040C8: D3AC7800 180355AC D3AD8C0C 84326954
	buffer_load_dwordx4 v[132:135], v191, s[16:19], 0 offen offset:1024// 0000000040D8: E05C1400 800484BF
	s_waitcnt lgkmcnt(0)                                       // 0000000040E0: BF8CC07F
	v_mfma_scale_f32_16x16x128_f8f6f4 a[96:99], v[72:75], v[56:59], a[96:99], v172, v171 op_sel_hi:[0,0,0] cbsz:4 blgp:4// 0000000040E4: D3AC6000 000357AC D3AD8C60 85827148
	v_mfma_scale_f32_16x16x128_f8f6f4 a[100:103], v[72:75], v[60:63], a[100:103], v172, v171 op_sel_hi:[0,0,0] cbsz:4 blgp:4// 0000000040F4: D3AC7000 000357AC D3AD8C64 85927948
	buffer_load_dword v175, v199, s[24:27], 0 offen            // 000000004104: E0501000 8006AFC7
	v_mfma_scale_f32_16x16x128_f8f6f4 a[104:107], v[76:79], v[56:59], a[104:107], v172, v171 op_sel_hi:[0,0,0] cbsz:4 blgp:4// 00000000410C: D3AC6800 000357AC D3AD8C68 85A2714C
	v_mfma_scale_f32_16x16x128_f8f6f4 a[108:111], v[76:79], v[60:63], a[108:111], v172, v171 op_sel_hi:[0,0,0] cbsz:4 blgp:4// 00000000411C: D3AC7800 000357AC D3AD8C6C 85B2794C
	v_mfma_scale_f32_16x16x128_f8f6f4 a[96:99], v[80:83], v[64:67], a[96:99], v172, v171 op_sel_hi:[0,0,0] cbsz:4 blgp:4// 00000000412C: D3AC6000 180357AC D3AD8C60 85828150
	v_mfma_scale_f32_16x16x128_f8f6f4 a[100:103], v[80:83], v[68:71], a[100:103], v172, v171 op_sel_hi:[0,0,0] cbsz:4 blgp:4// 00000000413C: D3AC7000 180357AC D3AD8C64 85928950
	v_mfma_scale_f32_16x16x128_f8f6f4 a[104:107], v[84:87], v[64:67], a[104:107], v172, v171 op_sel_hi:[0,0,0] cbsz:4 blgp:4// 00000000414C: D3AC0800 180357AC D3AD8C68 85A28154
	v_mfma_scale_f32_16x16x128_f8f6f4 a[108:111], v[84:87], v[68:71], a[108:111], v172, v171 op_sel_hi:[0,0,0] cbsz:4 blgp:4// 00000000415C: D3AC1800 180357AC D3AD8C6C 85B28954
	s_waitcnt vmcnt(10)                                        // 00000000416C: BF8C0F7A
	v_mfma_scale_f32_16x16x128_f8f6f4 a[16:19], v[88:91], v[40:43], a[16:19], v173, v170 op_sel_hi:[0,0,0] cbsz:4 blgp:4// 000000004170: D3AC6000 000355AD D3AD8C10 84425158
	v_mfma_scale_f32_16x16x128_f8f6f4 a[20:23], v[88:91], v[44:47], a[20:23], v173, v170 op_sel_hi:[0,0,0] cbsz:4 blgp:4// 000000004180: D3AC7000 000355AD D3AD8C14 84525958
	buffer_load_dwordx4 v[136:139], v192, s[16:19], 0 offen    // 000000004190: E05C1000 800488C0
	v_mfma_scale_f32_16x16x128_f8f6f4 a[24:27], v[92:95], v[40:43], a[24:27], v173, v170 op_sel_hi:[0,0,0] cbsz:4 blgp:4// 000000004198: D3AC6800 000355AD D3AD8C18 8462515C
	v_mfma_scale_f32_16x16x128_f8f6f4 a[28:31], v[92:95], v[44:47], a[28:31], v173, v170 op_sel_hi:[0,0,0] cbsz:4 blgp:4// 0000000041A8: D3AC7800 000355AD D3AD8C1C 8472595C
	buffer_load_dwordx4 v[140:143], v193, s[16:19], 0 offen    // 0000000041B8: E05C1000 80048CC1
	v_mfma_scale_f32_16x16x128_f8f6f4 a[16:19], v[96:99], v[48:51], a[16:19], v173, v170 op_sel_hi:[0,0,0] cbsz:4 blgp:4// 0000000041C0: D3AC6000 180355AD D3AD8C10 84426160
	v_mfma_scale_f32_16x16x128_f8f6f4 a[20:23], v[96:99], v[52:55], a[20:23], v173, v170 op_sel_hi:[0,0,0] cbsz:4 blgp:4// 0000000041D0: D3AC7000 180355AD D3AD8C14 84526960
	buffer_load_dwordx4 v[144:147], v192, s[16:19], 0 offen offset:1024// 0000000041E0: E05C1400 800490C0
	v_mfma_scale_f32_16x16x128_f8f6f4 a[24:27], v[100:103], v[48:51], a[24:27], v173, v170 op_sel_hi:[0,0,0] cbsz:4 blgp:4// 0000000041E8: D3AC6800 180355AD D3AD8C18 84626164
	v_mfma_scale_f32_16x16x128_f8f6f4 a[28:31], v[100:103], v[52:55], a[28:31], v173, v170 op_sel_hi:[0,0,0] cbsz:4 blgp:4// 0000000041F8: D3AC7800 180355AD D3AD8C1C 84726964
	buffer_load_dwordx4 v[148:151], v193, s[16:19], 0 offen offset:1024// 000000004208: E05C1400 800494C1
	v_mfma_scale_f32_16x16x128_f8f6f4 a[112:115], v[88:91], v[56:59], a[112:115], v173, v171 op_sel_hi:[0,0,0] cbsz:4 blgp:4// 000000004210: D3AC6000 000357AD D3AD8C70 85C27158
	v_mfma_scale_f32_16x16x128_f8f6f4 a[116:119], v[88:91], v[60:63], a[116:119], v173, v171 op_sel_hi:[0,0,0] cbsz:4 blgp:4// 000000004220: D3AC7000 000357AD D3AD8C74 85D27958
	buffer_load_dword v176, v200, s[24:27], 0 offen            // 000000004230: E0501000 8006B0C8
	v_mfma_scale_f32_16x16x128_f8f6f4 a[120:123], v[92:95], v[56:59], a[120:123], v173, v171 op_sel_hi:[0,0,0] cbsz:4 blgp:4// 000000004238: D3AC6800 000357AD D3AD8C78 85E2715C
	v_mfma_scale_f32_16x16x128_f8f6f4 a[124:127], v[92:95], v[60:63], a[124:127], v173, v171 op_sel_hi:[0,0,0] cbsz:4 blgp:4// 000000004248: D3AC7800 000357AD D3AD8C7C 85F2795C
	v_mfma_scale_f32_16x16x128_f8f6f4 a[112:115], v[96:99], v[64:67], a[112:115], v173, v171 op_sel_hi:[0,0,0] cbsz:4 blgp:4// 000000004258: D3AC6000 180357AD D3AD8C70 85C28160
	v_mfma_scale_f32_16x16x128_f8f6f4 a[116:119], v[96:99], v[68:71], a[116:119], v173, v171 op_sel_hi:[0,0,0] cbsz:4 blgp:4// 000000004268: D3AC7000 180357AD D3AD8C74 85D28960
	v_mfma_scale_f32_16x16x128_f8f6f4 a[120:123], v[100:103], v[64:67], a[120:123], v173, v171 op_sel_hi:[0,0,0] cbsz:4 blgp:4// 000000004278: D3AC6800 180357AD D3AD8C78 85E28164
	v_mfma_scale_f32_16x16x128_f8f6f4 a[124:127], v[100:103], v[68:71], a[124:127], v173, v171 op_sel_hi:[0,0,0] cbsz:4 blgp:4// 000000004288: D3AC7800 180357AD D3AD8C7C 85F28964
	s_waitcnt vmcnt(10)                                        // 000000004298: BF8C0F7A
	v_mfma_scale_f32_16x16x128_f8f6f4 a[32:35], v[104:107], v[40:43], a[32:35], v174, v170 op_sel_hi:[0,0,0] cbsz:4 blgp:4// 00000000429C: D3AC6000 000355AE D3AD8C20 84825168
	s_add_u32 s63, 0x100, s60                                  // 0000000042AC: 803F3CFF 00000100
	s_cmp_lt_u32 s63, s61                                      // 0000000042B4: BF0A3D3F
	v_mfma_scale_f32_16x16x128_f8f6f4 a[36:39], v[104:107], v[44:47], a[36:39], v174, v170 op_sel_hi:[0,0,0] cbsz:4 blgp:4// 0000000042B8: D3AC7000 000355AE D3AD8C24 84925968
	s_cselect_b32 s67, s67, 0                                  // 0000000042C8: 85438043
	buffer_load_dwordx4 v[152:155], v194, s[16:19], 0 offen    // 0000000042CC: E05C1000 800498C2
	v_mfma_scale_f32_16x16x128_f8f6f4 a[40:43], v[108:111], v[40:43], a[40:43], v174, v170 op_sel_hi:[0,0,0] cbsz:4 blgp:4// 0000000042D4: D3AC6800 000355AE D3AD8C28 84A2516C
	s_cselect_b32 s69, s69, 0                                  // 0000000042E4: 85458045
	v_mfma_scale_f32_16x16x128_f8f6f4 a[44:47], v[108:111], v[44:47], a[44:47], v174, v170 op_sel_hi:[0,0,0] cbsz:4 blgp:4// 0000000042E8: D3AC7800 000355AE D3AD8C2C 84B2596C
	buffer_load_dwordx4 v[156:159], v195, s[16:19], 0 offen    // 0000000042F8: E05C1000 80049CC3
	v_mfma_scale_f32_16x16x128_f8f6f4 a[32:35], v[112:115], v[48:51], a[32:35], v174, v170 op_sel_hi:[0,0,0] cbsz:4 blgp:4// 000000004300: D3AC6000 180355AE D3AD8C20 84826170
	v_mfma_scale_f32_16x16x128_f8f6f4 a[36:39], v[112:115], v[52:55], a[36:39], v174, v170 op_sel_hi:[0,0,0] cbsz:4 blgp:4// 000000004310: D3AC7000 180355AE D3AD8C24 84926970
	buffer_load_dwordx4 v[160:163], v194, s[16:19], 0 offen offset:1024// 000000004320: E05C1400 8004A0C2
	v_mfma_scale_f32_16x16x128_f8f6f4 a[40:43], v[116:119], v[48:51], a[40:43], v174, v170 op_sel_hi:[0,0,0] cbsz:4 blgp:4// 000000004328: D3AC6800 180355AE D3AD8C28 84A26174
	v_mfma_scale_f32_16x16x128_f8f6f4 a[44:47], v[116:119], v[52:55], a[44:47], v174, v170 op_sel_hi:[0,0,0] cbsz:4 blgp:4// 000000004338: D3AC7800 180355AE D3AD8C2C 84B26974
	buffer_load_dwordx4 v[164:167], v195, s[16:19], 0 offen offset:1024// 000000004348: E05C1400 8004A4C3
	v_mfma_scale_f32_16x16x128_f8f6f4 a[128:131], v[104:107], v[56:59], a[128:131], v174, v171 op_sel_hi:[0,0,0] cbsz:4 blgp:4// 000000004350: D3AC6000 000357AE D3AD8C80 86027168
	v_mfma_scale_f32_16x16x128_f8f6f4 a[132:135], v[104:107], v[60:63], a[132:135], v174, v171 op_sel_hi:[0,0,0] cbsz:4 blgp:4// 000000004360: D3AC7000 000357AE D3AD8C84 86127968
	buffer_load_dword v177, v201, s[24:27], 0 offen            // 000000004370: E0501000 8006B1C9
	v_mfma_scale_f32_16x16x128_f8f6f4 a[136:139], v[108:111], v[56:59], a[136:139], v174, v171 op_sel_hi:[0,0,0] cbsz:4 blgp:4// 000000004378: D3AC6800 000357AE D3AD8C88 8622716C
	s_add_u32 s16, s16, s67                                    // 000000004388: 80104310
	s_addc_u32 s17, 0, s17                                     // 00000000438C: 82111180
	v_mfma_scale_f32_16x16x128_f8f6f4 a[140:143], v[108:111], v[60:63], a[140:143], v174, v171 op_sel_hi:[0,0,0] cbsz:4 blgp:4// 000000004390: D3AC7800 000357AE D3AD8C8C 8632796C
	s_sub_u32 s18, s18, s67                                    // 0000000043A0: 80924312
	s_add_u32 s24, s24, s69                                    // 0000000043A4: 80184518
	v_mfma_scale_f32_16x16x128_f8f6f4 a[128:131], v[112:115], v[64:67], a[128:131], v174, v171 op_sel_hi:[0,0,0] cbsz:4 blgp:4// 0000000043A8: D3AC6000 180357AE D3AD8C80 86028170
	s_addc_u32 s25, 0, s25                                     // 0000000043B8: 82191980
	s_sub_u32 s26, s26, s69                                    // 0000000043BC: 809A451A
	v_mfma_scale_f32_16x16x128_f8f6f4 a[132:135], v[112:115], v[68:71], a[132:135], v174, v171 op_sel_hi:[0,0,0] cbsz:4 blgp:4// 0000000043C0: D3AC7000 180357AE D3AD8C84 86128970
	s_add_u32 m0, 0, s65                                       // 0000000043D0: 807C4180
	buffer_load_dword v182, s[20:23], 0 offen lds              // 0000000043D4: E0511000 800500B6
	v_mfma_scale_f32_16x16x128_f8f6f4 a[136:139], v[116:119], v[64:67], a[136:139], v174, v171 op_sel_hi:[0,0,0] cbsz:4 blgp:4// 0000000043DC: D3AC6800 180357AE D3AD8C88 86228174
	v_mfma_scale_f32_16x16x128_f8f6f4 a[140:143], v[116:119], v[68:71], a[140:143], v174, v171 op_sel_hi:[0,0,0] cbsz:4 blgp:4// 0000000043EC: D3AC7800 180357AE D3AD8C8C 86328974
	s_waitcnt vmcnt(11)                                        // 0000000043FC: BF8C0F7B
	v_mfma_scale_f32_16x16x128_f8f6f4 a[48:51], v[120:123], v[40:43], a[48:51], v175, v170 op_sel_hi:[0,0,0] cbsz:4 blgp:4// 000000004400: D3AC6000 000355AF D3AD8C30 84C25178
	v_mfma_scale_f32_16x16x128_f8f6f4 a[52:55], v[120:123], v[44:47], a[52:55], v175, v170 op_sel_hi:[0,0,0] cbsz:4 blgp:4// 000000004410: D3AC7000 000355AF D3AD8C34 84D25978
	s_add_u32 m0, 0, s64                                       // 000000004420: 807C4080
	buffer_load_dwordx4 v178, s[12:15], 0 offen lds            // 000000004424: E05D1000 800300B2
	v_mfma_scale_f32_16x16x128_f8f6f4 a[56:59], v[124:127], v[40:43], a[56:59], v175, v170 op_sel_hi:[0,0,0] cbsz:4 blgp:4// 00000000442C: D3AC6800 000355AF D3AD8C38 84E2517C
	v_mfma_scale_f32_16x16x128_f8f6f4 a[60:63], v[124:127], v[44:47], a[60:63], v175, v170 op_sel_hi:[0,0,0] cbsz:4 blgp:4// 00000000443C: D3AC7800 000355AF D3AD8C3C 84F2597C
	s_add_u32 m0, 0x1080, s64                                  // 00000000444C: 807C40FF 00001080
	buffer_load_dwordx4 v179, s[12:15], 0 offen lds            // 000000004454: E05D1000 800300B3
	v_mfma_scale_f32_16x16x128_f8f6f4 a[48:51], v[128:131], v[48:51], a[48:51], v175, v170 op_sel_hi:[0,0,0] cbsz:4 blgp:4// 00000000445C: D3AC6000 180355AF D3AD8C30 84C26180
	s_add_u32 s62, 0x200, s60                                  // 00000000446C: 803E3CFF 00000200
	s_cmp_lt_u32 s62, s61                                      // 000000004474: BF0A3D3E
	v_mfma_scale_f32_16x16x128_f8f6f4 a[52:55], v[128:131], v[52:55], a[52:55], v175, v170 op_sel_hi:[0,0,0] cbsz:4 blgp:4// 000000004478: D3AC7000 180355AF D3AD8C34 84D26980
	s_cselect_b32 s66, s66, 0                                  // 000000004488: 85428042
	buffer_load_dwordx4 v[72:75], v184, s[16:19], 0 offen      // 00000000448C: E05C1000 800448B8
	v_mfma_scale_f32_16x16x128_f8f6f4 a[56:59], v[132:135], v[48:51], a[56:59], v175, v170 op_sel_hi:[0,0,0] cbsz:4 blgp:4// 000000004494: D3AC6800 180355AF D3AD8C38 84E26184
	s_cselect_b32 s68, s68, 0                                  // 0000000044A4: 85448044
	s_add_u32 s12, s12, s66                                    // 0000000044A8: 800C420C
	v_mfma_scale_f32_16x16x128_f8f6f4 a[60:63], v[132:135], v[52:55], a[60:63], v175, v170 op_sel_hi:[0,0,0] cbsz:4 blgp:4// 0000000044AC: D3AC7800 180355AF D3AD8C3C 84F26984
	s_addc_u32 s13, 0, s13                                     // 0000000044BC: 820D0D80
	buffer_load_dwordx4 v[76:79], v185, s[16:19], 0 offen      // 0000000044C0: E05C1000 80044CB9
	v_mfma_scale_f32_16x16x128_f8f6f4 a[144:147], v[120:123], v[56:59], a[144:147], v175, v171 op_sel_hi:[0,0,0] cbsz:4 blgp:4// 0000000044C8: D3AC6000 000357AF D3AD8C90 86427178
	s_sub_u32 s14, s14, s66                                    // 0000000044D8: 808E420E
	s_add_u32 s20, s20, s68                                    // 0000000044DC: 80144414
	v_mfma_scale_f32_16x16x128_f8f6f4 a[148:151], v[120:123], v[60:63], a[148:151], v175, v171 op_sel_hi:[0,0,0] cbsz:4 blgp:4// 0000000044E0: D3AC7000 000357AF D3AD8C94 86527978
	s_addc_u32 s21, 0, s21                                     // 0000000044F0: 82151580
	buffer_load_dwordx4 v[80:83], v184, s[16:19], 0 offen offset:1024// 0000000044F4: E05C1400 800450B8
	v_mfma_scale_f32_16x16x128_f8f6f4 a[152:155], v[124:127], v[56:59], a[152:155], v175, v171 op_sel_hi:[0,0,0] cbsz:4 blgp:4// 0000000044FC: D3AC6800 000357AF D3AD8C98 8662717C
	s_sub_u32 s22, s22, s68                                    // 00000000450C: 80964416
	v_mfma_scale_f32_16x16x128_f8f6f4 a[156:159], v[124:127], v[60:63], a[156:159], v175, v171 op_sel_hi:[0,0,0] cbsz:4 blgp:4// 000000004510: D3AC7800 000357AF D3AD8C9C 8672797C
	buffer_load_dwordx4 v[84:87], v185, s[16:19], 0 offen offset:1024// 000000004520: E05C1400 800454B9
	v_mfma_scale_f32_16x16x128_f8f6f4 a[144:147], v[128:131], v[64:67], a[144:147], v175, v171 op_sel_hi:[0,0,0] cbsz:4 blgp:4// 000000004528: D3AC6000 180357AF D3AD8C90 86428180
	v_mfma_scale_f32_16x16x128_f8f6f4 a[148:151], v[128:131], v[68:71], a[148:151], v175, v171 op_sel_hi:[0,0,0] cbsz:4 blgp:4// 000000004538: D3AC7000 180357AF D3AD8C94 86528980
	buffer_load_dword v172, v196, s[24:27], 0 offen            // 000000004548: E0501000 8006ACC4
	v_mfma_scale_f32_16x16x128_f8f6f4 a[152:155], v[132:135], v[64:67], a[152:155], v175, v171 op_sel_hi:[0,0,0] cbsz:4 blgp:4// 000000004550: D3AC6800 180357AF D3AD8C98 86628184
	v_mfma_scale_f32_16x16x128_f8f6f4 a[156:159], v[132:135], v[68:71], a[156:159], v175, v171 op_sel_hi:[0,0,0] cbsz:4 blgp:4// 000000004560: D3AC7800 180357AF D3AD8C9C 86728984
	s_waitcnt vmcnt(13)                                        // 000000004570: BF8C0F7D
	v_mfma_scale_f32_16x16x128_f8f6f4 a[64:67], v[136:139], v[40:43], a[64:67], v176, v170 op_sel_hi:[0,0,0] cbsz:4 blgp:4// 000000004574: D3AC6000 000355B0 D3AD8C40 85025188
	v_mfma_scale_f32_16x16x128_f8f6f4 a[68:71], v[136:139], v[44:47], a[68:71], v176, v170 op_sel_hi:[0,0,0] cbsz:4 blgp:4// 000000004584: D3AC7000 000355B0 D3AD8C44 85125988
	buffer_load_dwordx4 v[88:91], v186, s[16:19], 0 offen      // 000000004594: E05C1000 800458BA
	v_mfma_scale_f32_16x16x128_f8f6f4 a[72:75], v[140:143], v[40:43], a[72:75], v176, v170 op_sel_hi:[0,0,0] cbsz:4 blgp:4// 00000000459C: D3AC6800 000355B0 D3AD8C48 8522518C
	v_mfma_scale_f32_16x16x128_f8f6f4 a[76:79], v[140:143], v[44:47], a[76:79], v176, v170 op_sel_hi:[0,0,0] cbsz:4 blgp:4// 0000000045AC: D3AC7800 000355B0 D3AD8C4C 8532598C
	buffer_load_dwordx4 v[92:95], v187, s[16:19], 0 offen      // 0000000045BC: E05C1000 80045CBB
	v_mfma_scale_f32_16x16x128_f8f6f4 a[64:67], v[144:147], v[48:51], a[64:67], v176, v170 op_sel_hi:[0,0,0] cbsz:4 blgp:4// 0000000045C4: D3AC6000 180355B0 D3AD8C40 85026190
	v_mfma_scale_f32_16x16x128_f8f6f4 a[68:71], v[144:147], v[52:55], a[68:71], v176, v170 op_sel_hi:[0,0,0] cbsz:4 blgp:4// 0000000045D4: D3AC7000 180355B0 D3AD8C44 85126990
	buffer_load_dwordx4 v[96:99], v186, s[16:19], 0 offen offset:1024// 0000000045E4: E05C1400 800460BA
	v_mfma_scale_f32_16x16x128_f8f6f4 a[72:75], v[148:151], v[48:51], a[72:75], v176, v170 op_sel_hi:[0,0,0] cbsz:4 blgp:4// 0000000045EC: D3AC6800 180355B0 D3AD8C48 85226194
	v_mfma_scale_f32_16x16x128_f8f6f4 a[76:79], v[148:151], v[52:55], a[76:79], v176, v170 op_sel_hi:[0,0,0] cbsz:4 blgp:4// 0000000045FC: D3AC7800 180355B0 D3AD8C4C 85326994
	buffer_load_dwordx4 v[100:103], v187, s[16:19], 0 offen offset:1024// 00000000460C: E05C1400 800464BB
	v_mfma_scale_f32_16x16x128_f8f6f4 a[160:163], v[136:139], v[56:59], a[160:163], v176, v171 op_sel_hi:[0,0,0] cbsz:4 blgp:4// 000000004614: D3AC6000 000357B0 D3AD8CA0 86827188
	v_mfma_scale_f32_16x16x128_f8f6f4 a[164:167], v[136:139], v[60:63], a[164:167], v176, v171 op_sel_hi:[0,0,0] cbsz:4 blgp:4// 000000004624: D3AC7000 000357B0 D3AD8CA4 86927988
	buffer_load_dword v173, v197, s[24:27], 0 offen            // 000000004634: E0501000 8006ADC5
	v_mfma_scale_f32_16x16x128_f8f6f4 a[168:171], v[140:143], v[56:59], a[168:171], v176, v171 op_sel_hi:[0,0,0] cbsz:4 blgp:4// 00000000463C: D3AC6800 000357B0 D3AD8CA8 86A2718C
	v_mfma_scale_f32_16x16x128_f8f6f4 a[172:175], v[140:143], v[60:63], a[172:175], v176, v171 op_sel_hi:[0,0,0] cbsz:4 blgp:4// 00000000464C: D3AC7800 000357B0 D3AD8CAC 86B2798C
	v_mfma_scale_f32_16x16x128_f8f6f4 a[160:163], v[144:147], v[64:67], a[160:163], v176, v171 op_sel_hi:[0,0,0] cbsz:4 blgp:4// 00000000465C: D3AC6000 180357B0 D3AD8CA0 86828190
	v_mfma_scale_f32_16x16x128_f8f6f4 a[164:167], v[144:147], v[68:71], a[164:167], v176, v171 op_sel_hi:[0,0,0] cbsz:4 blgp:4// 00000000466C: D3AC7000 180357B0 D3AD8CA4 86928990
	v_mfma_scale_f32_16x16x128_f8f6f4 a[168:171], v[148:151], v[64:67], a[168:171], v176, v171 op_sel_hi:[0,0,0] cbsz:4 blgp:4// 00000000467C: D3AC6800 180357B0 D3AD8CA8 86A28194
	v_mfma_scale_f32_16x16x128_f8f6f4 a[172:175], v[148:151], v[68:71], a[172:175], v176, v171 op_sel_hi:[0,0,0] cbsz:4 blgp:4// 00000000468C: D3AC7800 180357B0 D3AD8CAC 86B28994
	s_waitcnt vmcnt(10)                                        // 00000000469C: BF8C0F7A
	s_barrier                                                  // 0000000046A0: BF8A0000
	v_mfma_scale_f32_16x16x128_f8f6f4 a[80:83], v[152:155], v[40:43], a[80:83], v177, v170 op_sel_hi:[0,0,0] cbsz:4 blgp:4// 0000000046A4: D3AC6000 000355B1 D3AD8C50 85425198
	s_addk_i32 s60, 0x100                                      // 0000000046B4: B73C0100
	ds_read_b128 v[8:11], v180                                 // 0000000046B8: D9FE0000 080000B4
	v_mfma_scale_f32_16x16x128_f8f6f4 a[84:87], v[152:155], v[44:47], a[84:87], v177, v170 op_sel_hi:[0,0,0] cbsz:4 blgp:4// 0000000046C0: D3AC7000 000355B1 D3AD8C54 85525998
	s_cmp_lt_i32 s60, s61                                      // 0000000046D0: BF043D3C
	buffer_load_dwordx4 v[104:107], v188, s[16:19], 0 offen    // 0000000046D4: E05C1000 800468BC
	v_mfma_scale_f32_16x16x128_f8f6f4 a[88:91], v[156:159], v[40:43], a[88:91], v177, v170 op_sel_hi:[0,0,0] cbsz:4 blgp:4// 0000000046DC: D3AC6800 000355B1 D3AD8C58 8562519C
	ds_read_b128 v[16:19], v180 offset:64                      // 0000000046EC: D9FE0040 100000B4
	v_mfma_scale_f32_16x16x128_f8f6f4 a[92:95], v[156:159], v[44:47], a[92:95], v177, v170 op_sel_hi:[0,0,0] cbsz:4 blgp:4// 0000000046F4: D3AC7800 000355B1 D3AD8C5C 8572599C
	buffer_load_dwordx4 v[108:111], v189, s[16:19], 0 offen    // 000000004704: E05C1000 80046CBD
	v_mfma_scale_f32_16x16x128_f8f6f4 a[80:83], v[160:163], v[48:51], a[80:83], v177, v170 op_sel_hi:[0,0,0] cbsz:4 blgp:4// 00000000470C: D3AC6000 180355B1 D3AD8C50 854261A0
	ds_read_b128 v[12:15], v180 offset:512                     // 00000000471C: D9FE0200 0C0000B4
	v_mfma_scale_f32_16x16x128_f8f6f4 a[84:87], v[160:163], v[52:55], a[84:87], v177, v170 op_sel_hi:[0,0,0] cbsz:4 blgp:4// 000000004724: D3AC7000 180355B1 D3AD8C54 855269A0
	buffer_load_dwordx4 v[112:115], v188, s[16:19], 0 offen offset:1024// 000000004734: E05C1400 800470BC
	v_mfma_scale_f32_16x16x128_f8f6f4 a[88:91], v[164:167], v[48:51], a[88:91], v177, v170 op_sel_hi:[0,0,0] cbsz:4 blgp:4// 00000000473C: D3AC6800 180355B1 D3AD8C58 856261A4
	ds_read_b128 v[20:23], v180 offset:576                     // 00000000474C: D9FE0240 140000B4
	v_mfma_scale_f32_16x16x128_f8f6f4 a[92:95], v[164:167], v[52:55], a[92:95], v177, v170 op_sel_hi:[0,0,0] cbsz:4 blgp:4// 000000004754: D3AC7800 180355B1 D3AD8C5C 857269A4
	buffer_load_dwordx4 v[116:119], v189, s[16:19], 0 offen offset:1024// 000000004764: E05C1400 800474BD
	ds_read_b32 v168, v183                                     // 00000000476C: D86C0000 A80000B7
	v_mfma_scale_f32_16x16x128_f8f6f4 a[176:179], v[152:155], v[56:59], a[176:179], v177, v171 op_sel_hi:[0,0,0] cbsz:4 blgp:4// 000000004774: D3AC6000 000357B1 D3AD8CB0 86C27198
	ds_read_b128 v[24:27], v180 offset:4224                    // 000000004784: D9FE1080 180000B4
	v_mfma_scale_f32_16x16x128_f8f6f4 a[180:183], v[152:155], v[60:63], a[180:183], v177, v171 op_sel_hi:[0,0,0] cbsz:4 blgp:4// 00000000478C: D3AC7000 000357B1 D3AD8CB4 86D27998
	buffer_load_dword v174, v198, s[24:27], 0 offen            // 00000000479C: E0501000 8006AEC6
	v_mfma_scale_f32_16x16x128_f8f6f4 a[184:187], v[156:159], v[56:59], a[184:187], v177, v171 op_sel_hi:[0,0,0] cbsz:4 blgp:4// 0000000047A4: D3AC6800 000357B1 D3AD8CB8 86E2719C
	ds_read_b128 v[32:35], v180 offset:4288                    // 0000000047B4: D9FE10C0 200000B4
	v_mfma_scale_f32_16x16x128_f8f6f4 a[188:191], v[156:159], v[60:63], a[188:191], v177, v171 op_sel_hi:[0,0,0] cbsz:4 blgp:4// 0000000047BC: D3AC7800 000357B1 D3AD8CBC 86F2799C
	v_mfma_scale_f32_16x16x128_f8f6f4 a[176:179], v[160:163], v[64:67], a[176:179], v177, v171 op_sel_hi:[0,0,0] cbsz:4 blgp:4// 0000000047CC: D3AC6000 180357B1 D3AD8CB0 86C281A0
	ds_read_b128 v[28:31], v180 offset:4736                    // 0000000047DC: D9FE1280 1C0000B4
	v_mfma_scale_f32_16x16x128_f8f6f4 a[180:183], v[160:163], v[68:71], a[180:183], v177, v171 op_sel_hi:[0,0,0] cbsz:4 blgp:4// 0000000047E4: D3AC7000 180357B1 D3AD8CB4 86D289A0
	v_mfma_scale_f32_16x16x128_f8f6f4 a[184:187], v[164:167], v[64:67], a[184:187], v177, v171 op_sel_hi:[0,0,0] cbsz:4 blgp:4// 0000000047F4: D3AC6800 180357B1 D3AD8CB8 86E281A4
	ds_read_b128 v[36:39], v180 offset:4800                    // 000000004804: D9FE12C0 240000B4
	v_mfma_scale_f32_16x16x128_f8f6f4 a[188:191], v[164:167], v[68:71], a[188:191], v177, v171 op_sel_hi:[0,0,0] cbsz:4 blgp:4// 00000000480C: D3AC7800 180357B1 D3AD8CBC 86F289A4
	ds_read_b32 v169, v183 offset:256                          // 00000000481C: D86C0100 A90000B7
	s_cbranch_scc0 label_0B04                                  // 000000004824: BF8403FA
	s_branch label_0312                                        // 000000004828: BF82FC07

000000000000482c <label_070B>:
	s_waitcnt vmcnt(10) lgkmcnt(5)                             // 00000000482C: BF8C057A
	v_mfma_scale_f32_16x16x128_f8f6f4 a[0:3], v[72:75], v[8:11], a[0:3], v172, v168 op_sel_hi:[0,0,0] cbsz:4 blgp:4// 000000004830: D3AC6000 000351AC D3AD8C00 84021148
	buffer_load_dwordx4 v[120:123], v190, s[16:19], 0 offen    // 000000004840: E05C1000 800478BE
	v_mfma_scale_f32_16x16x128_f8f6f4 a[4:7], v[72:75], v[12:15], a[4:7], v172, v168 op_sel_hi:[0,0,0] cbsz:4 blgp:4// 000000004848: D3AC7000 000351AC D3AD8C04 84121948
	v_mfma_scale_f32_16x16x128_f8f6f4 a[8:11], v[76:79], v[8:11], a[8:11], v172, v168 op_sel_hi:[0,0,0] cbsz:4 blgp:4// 000000004858: D3AC6800 000351AC D3AD8C08 8422114C
	buffer_load_dwordx4 v[124:127], v191, s[16:19], 0 offen    // 000000004868: E05C1000 80047CBF
	v_mfma_scale_f32_16x16x128_f8f6f4 a[12:15], v[76:79], v[12:15], a[12:15], v172, v168 op_sel_hi:[0,0,0] cbsz:4 blgp:4// 000000004870: D3AC7800 000351AC D3AD8C0C 8432194C
	v_mfma_scale_f32_16x16x128_f8f6f4 a[0:3], v[80:83], v[16:19], a[0:3], v172, v168 op_sel_hi:[0,0,0] cbsz:4 blgp:4// 000000004880: D3AC6000 180351AC D3AD8C00 84022150
	buffer_load_dwordx4 v[128:131], v190, s[16:19], 0 offen offset:1024// 000000004890: E05C1400 800480BE
	v_mfma_scale_f32_16x16x128_f8f6f4 a[4:7], v[80:83], v[20:23], a[4:7], v172, v168 op_sel_hi:[0,0,0] cbsz:4 blgp:4// 000000004898: D3AC7000 180351AC D3AD8C04 84122950
	v_mfma_scale_f32_16x16x128_f8f6f4 a[8:11], v[84:87], v[16:19], a[8:11], v172, v168 op_sel_hi:[0,0,0] cbsz:4 blgp:4// 0000000048A8: D3AC6800 180351AC D3AD8C08 84222154
	buffer_load_dwordx4 v[132:135], v191, s[16:19], 0 offen offset:1024// 0000000048B8: E05C1400 800484BF
	v_mfma_scale_f32_16x16x128_f8f6f4 a[12:15], v[84:87], v[20:23], a[12:15], v172, v168 op_sel_hi:[0,0,0] cbsz:4 blgp:4// 0000000048C0: D3AC7800 180351AC D3AD8C0C 84322954
	s_waitcnt lgkmcnt(0)                                       // 0000000048D0: BF8CC07F
	v_mfma_scale_f32_16x16x128_f8f6f4 a[96:99], v[72:75], v[24:27], a[96:99], v172, v169 op_sel_hi:[0,0,0] cbsz:4 blgp:4// 0000000048D4: D3AC6000 000353AC D3AD8C60 85823148
	buffer_load_dword v175, v199, s[24:27], 0 offen            // 0000000048E4: E0501000 8006AFC7
	v_mfma_scale_f32_16x16x128_f8f6f4 a[100:103], v[72:75], v[28:31], a[100:103], v172, v169 op_sel_hi:[0,0,0] cbsz:4 blgp:4// 0000000048EC: D3AC7000 000353AC D3AD8C64 85923948
	v_mfma_scale_f32_16x16x128_f8f6f4 a[104:107], v[76:79], v[24:27], a[104:107], v172, v169 op_sel_hi:[0,0,0] cbsz:4 blgp:4// 0000000048FC: D3AC6800 000353AC D3AD8C68 85A2314C
	v_mfma_scale_f32_16x16x128_f8f6f4 a[108:111], v[76:79], v[28:31], a[108:111], v172, v169 op_sel_hi:[0,0,0] cbsz:4 blgp:4// 00000000490C: D3AC7800 000353AC D3AD8C6C 85B2394C
	v_mfma_scale_f32_16x16x128_f8f6f4 a[96:99], v[80:83], v[32:35], a[96:99], v172, v169 op_sel_hi:[0,0,0] cbsz:4 blgp:4// 00000000491C: D3AC6000 180353AC D3AD8C60 85824150
	v_mfma_scale_f32_16x16x128_f8f6f4 a[100:103], v[80:83], v[36:39], a[100:103], v172, v169 op_sel_hi:[0,0,0] cbsz:4 blgp:4// 00000000492C: D3AC7000 180353AC D3AD8C64 85924950
	v_mfma_scale_f32_16x16x128_f8f6f4 a[104:107], v[84:87], v[32:35], a[104:107], v172, v169 op_sel_hi:[0,0,0] cbsz:4 blgp:4// 00000000493C: D3AC6800 180353AC D3AD8C68 85A24154
	v_mfma_scale_f32_16x16x128_f8f6f4 a[108:111], v[84:87], v[36:39], a[108:111], v172, v169 op_sel_hi:[0,0,0] cbsz:4 blgp:4// 00000000494C: D3AC7800 180353AC D3AD8C6C 85B24954
	s_waitcnt vmcnt(10)                                        // 00000000495C: BF8C0F7A
	v_mfma_scale_f32_16x16x128_f8f6f4 a[16:19], v[88:91], v[8:11], a[16:19], v173, v168 op_sel_hi:[0,0,0] cbsz:4 blgp:4// 000000004960: D3AC6000 000351AD D3AD8C10 84421158
	buffer_load_dwordx4 v[136:139], v192, s[16:19], 0 offen    // 000000004970: E05C1000 800488C0
	v_mfma_scale_f32_16x16x128_f8f6f4 a[20:23], v[88:91], v[12:15], a[20:23], v173, v168 op_sel_hi:[0,0,0] cbsz:4 blgp:4// 000000004978: D3AC7000 000351AD D3AD8C14 84521958
	v_mfma_scale_f32_16x16x128_f8f6f4 a[24:27], v[92:95], v[8:11], a[24:27], v173, v168 op_sel_hi:[0,0,0] cbsz:4 blgp:4// 000000004988: D3AC6800 000351AD D3AD8C18 8462115C
	buffer_load_dwordx4 v[140:143], v193, s[16:19], 0 offen    // 000000004998: E05C1000 80048CC1
	v_mfma_scale_f32_16x16x128_f8f6f4 a[28:31], v[92:95], v[12:15], a[28:31], v173, v168 op_sel_hi:[0,0,0] cbsz:4 blgp:4// 0000000049A0: D3AC7800 000351AD D3AD8C1C 8472195C
	v_mfma_scale_f32_16x16x128_f8f6f4 a[16:19], v[96:99], v[16:19], a[16:19], v173, v168 op_sel_hi:[0,0,0] cbsz:4 blgp:4// 0000000049B0: D3AC6000 180351AD D3AD8C10 84422160
	buffer_load_dwordx4 v[144:147], v192, s[16:19], 0 offen offset:1024// 0000000049C0: E05C1400 800490C0
	v_mfma_scale_f32_16x16x128_f8f6f4 a[20:23], v[96:99], v[20:23], a[20:23], v173, v168 op_sel_hi:[0,0,0] cbsz:4 blgp:4// 0000000049C8: D3AC7000 180351AD D3AD8C14 84522960
	v_mfma_scale_f32_16x16x128_f8f6f4 a[24:27], v[100:103], v[16:19], a[24:27], v173, v168 op_sel_hi:[0,0,0] cbsz:4 blgp:4// 0000000049D8: D3AC6800 180351AD D3AD8C18 84622164
	buffer_load_dwordx4 v[148:151], v193, s[16:19], 0 offen offset:1024// 0000000049E8: E05C1400 800494C1
	v_mfma_scale_f32_16x16x128_f8f6f4 a[28:31], v[100:103], v[20:23], a[28:31], v173, v168 op_sel_hi:[0,0,0] cbsz:4 blgp:4// 0000000049F0: D3AC7800 180351AD D3AD8C1C 84722964
	v_mfma_scale_f32_16x16x128_f8f6f4 a[112:115], v[88:91], v[24:27], a[112:115], v173, v169 op_sel_hi:[0,0,0] cbsz:4 blgp:4// 000000004A00: D3AC6000 000353AD D3AD8C70 85C23158
	buffer_load_dword v176, v200, s[24:27], 0 offen            // 000000004A10: E0501000 8006B0C8
	v_mfma_scale_f32_16x16x128_f8f6f4 a[116:119], v[88:91], v[28:31], a[116:119], v173, v169 op_sel_hi:[0,0,0] cbsz:4 blgp:4// 000000004A18: D3AC7000 000353AD D3AD8C74 85D23958
	v_mfma_scale_f32_16x16x128_f8f6f4 a[120:123], v[92:95], v[24:27], a[120:123], v173, v169 op_sel_hi:[0,0,0] cbsz:4 blgp:4// 000000004A28: D3AC6800 000353AD D3AD8C78 85E2315C
	v_mfma_scale_f32_16x16x128_f8f6f4 a[124:127], v[92:95], v[28:31], a[124:127], v173, v169 op_sel_hi:[0,0,0] cbsz:4 blgp:4// 000000004A38: D3AC7800 000353AD D3AD8C7C 85F2395C
	v_mfma_scale_f32_16x16x128_f8f6f4 a[112:115], v[96:99], v[32:35], a[112:115], v173, v169 op_sel_hi:[0,0,0] cbsz:4 blgp:4// 000000004A48: D3AC6000 180353AD D3AD8C70 85C24160
	v_mfma_scale_f32_16x16x128_f8f6f4 a[116:119], v[96:99], v[36:39], a[116:119], v173, v169 op_sel_hi:[0,0,0] cbsz:4 blgp:4// 000000004A58: D3AC7000 180353AD D3AD8C74 85D24960
	v_mfma_scale_f32_16x16x128_f8f6f4 a[120:123], v[100:103], v[32:35], a[120:123], v173, v169 op_sel_hi:[0,0,0] cbsz:4 blgp:4// 000000004A68: D3AC6800 180353AD D3AD8C78 85E24164
	v_mfma_scale_f32_16x16x128_f8f6f4 a[124:127], v[100:103], v[36:39], a[124:127], v173, v169 op_sel_hi:[0,0,0] cbsz:4 blgp:4// 000000004A78: D3AC7800 180353AD D3AD8C7C 85F24964
	s_waitcnt vmcnt(10)                                        // 000000004A88: BF8C0F7A
	v_mfma_scale_f32_16x16x128_f8f6f4 a[32:35], v[104:107], v[8:11], a[32:35], v174, v168 op_sel_hi:[0,0,0] cbsz:4 blgp:4// 000000004A8C: D3AC6000 000351AE D3AD8C20 84821168
	s_add_u32 s63, 0x100, s60                                  // 000000004A9C: 803F3CFF 00000100
	buffer_load_dwordx4 v[152:155], v194, s[16:19], 0 offen    // 000000004AA4: E05C1000 800498C2
	v_mfma_scale_f32_16x16x128_f8f6f4 a[36:39], v[104:107], v[12:15], a[36:39], v174, v168 op_sel_hi:[0,0,0] cbsz:4 blgp:4// 000000004AAC: D3AC7000 000351AE D3AD8C24 84921968
	s_cmp_lt_u32 s63, s61                                      // 000000004ABC: BF0A3D3F
	s_cselect_b32 s67, s67, 0                                  // 000000004AC0: 85438043
	v_mfma_scale_f32_16x16x128_f8f6f4 a[40:43], v[108:111], v[8:11], a[40:43], v174, v168 op_sel_hi:[0,0,0] cbsz:4 blgp:4// 000000004AC4: D3AC6800 000351AE D3AD8C28 84A2116C
	s_cselect_b32 s69, s69, 0                                  // 000000004AD4: 85458045
	buffer_load_dwordx4 v[156:159], v195, s[16:19], 0 offen    // 000000004AD8: E05C1000 80049CC3
	v_mfma_scale_f32_16x16x128_f8f6f4 a[44:47], v[108:111], v[12:15], a[44:47], v174, v168 op_sel_hi:[0,0,0] cbsz:4 blgp:4// 000000004AE0: D3AC7800 000351AE D3AD8C2C 84B2196C
	v_mfma_scale_f32_16x16x128_f8f6f4 a[32:35], v[112:115], v[16:19], a[32:35], v174, v168 op_sel_hi:[0,0,0] cbsz:4 blgp:4// 000000004AF0: D3AC6000 180351AE D3AD8C20 84822170
	buffer_load_dwordx4 v[160:163], v194, s[16:19], 0 offen offset:1024// 000000004B00: E05C1400 8004A0C2
	v_mfma_scale_f32_16x16x128_f8f6f4 a[36:39], v[112:115], v[20:23], a[36:39], v174, v168 op_sel_hi:[0,0,0] cbsz:4 blgp:4// 000000004B08: D3AC7000 180351AE D3AD8C24 84922970
	v_mfma_scale_f32_16x16x128_f8f6f4 a[40:43], v[116:119], v[16:19], a[40:43], v174, v168 op_sel_hi:[0,0,0] cbsz:4 blgp:4// 000000004B18: D3AC6800 180351AE D3AD8C28 84A22174
	buffer_load_dwordx4 v[164:167], v195, s[16:19], 0 offen offset:1024// 000000004B28: E05C1400 8004A4C3
	v_mfma_scale_f32_16x16x128_f8f6f4 a[44:47], v[116:119], v[20:23], a[44:47], v174, v168 op_sel_hi:[0,0,0] cbsz:4 blgp:4// 000000004B30: D3AC7800 180351AE D3AD8C2C 84B22974
	v_mfma_scale_f32_16x16x128_f8f6f4 a[128:131], v[104:107], v[24:27], a[128:131], v174, v169 op_sel_hi:[0,0,0] cbsz:4 blgp:4// 000000004B40: D3AC6000 000353AE D3AD8C80 86023168
	buffer_load_dword v177, v201, s[24:27], 0 offen            // 000000004B50: E0501000 8006B1C9
	v_mfma_scale_f32_16x16x128_f8f6f4 a[132:135], v[104:107], v[28:31], a[132:135], v174, v169 op_sel_hi:[0,0,0] cbsz:4 blgp:4// 000000004B58: D3AC7000 000353AE D3AD8C84 86123968
	s_add_u32 s16, s16, s67                                    // 000000004B68: 80104310
	s_addc_u32 s17, 0, s17                                     // 000000004B6C: 82111180
	v_mfma_scale_f32_16x16x128_f8f6f4 a[136:139], v[108:111], v[24:27], a[136:139], v174, v169 op_sel_hi:[0,0,0] cbsz:4 blgp:4// 000000004B70: D3AC6800 000353AE D3AD8C88 8622316C
	s_sub_u32 s18, s18, s67                                    // 000000004B80: 80924312
	s_add_u32 s24, s24, s69                                    // 000000004B84: 80184518
	v_mfma_scale_f32_16x16x128_f8f6f4 a[140:143], v[108:111], v[28:31], a[140:143], v174, v169 op_sel_hi:[0,0,0] cbsz:4 blgp:4// 000000004B88: D3AC7800 000353AE D3AD8C8C 8632396C
	s_addc_u32 s25, 0, s25                                     // 000000004B98: 82191980
	s_sub_u32 s26, s26, s69                                    // 000000004B9C: 809A451A
	v_mfma_scale_f32_16x16x128_f8f6f4 a[128:131], v[112:115], v[32:35], a[128:131], v174, v169 op_sel_hi:[0,0,0] cbsz:4 blgp:4// 000000004BA0: D3AC6000 180353AE D3AD8C80 86024170
	s_add_u32 m0, 0x400, s65                                   // 000000004BB0: 807C41FF 00000400
	buffer_load_dword v182, s[20:23], 0 offen lds              // 000000004BB8: E0511000 800500B6
	v_mfma_scale_f32_16x16x128_f8f6f4 a[132:135], v[112:115], v[36:39], a[132:135], v174, v169 op_sel_hi:[0,0,0] cbsz:4 blgp:4// 000000004BC0: D3AC7000 180353AE D3AD8C84 86124970
	v_mfma_scale_f32_16x16x128_f8f6f4 a[136:139], v[116:119], v[32:35], a[136:139], v174, v169 op_sel_hi:[0,0,0] cbsz:4 blgp:4// 000000004BD0: D3AC6800 180353AE D3AD8C88 86224174
	v_mfma_scale_f32_16x16x128_f8f6f4 a[140:143], v[116:119], v[36:39], a[140:143], v174, v169 op_sel_hi:[0,0,0] cbsz:4 blgp:4// 000000004BE0: D3AC7800 180353AE D3AD8C8C 86324974
	s_waitcnt vmcnt(11)                                        // 000000004BF0: BF8C0F7B
	v_mfma_scale_f32_16x16x128_f8f6f4 a[48:51], v[120:123], v[8:11], a[48:51], v175, v168 op_sel_hi:[0,0,0] cbsz:4 blgp:4// 000000004BF4: D3AC6000 000351AF D3AD8C30 84C21178
	s_add_u32 m0, 0x2100, s64                                  // 000000004C04: 807C40FF 00002100
	buffer_load_dwordx4 v178, s[12:15], 0 offen lds            // 000000004C0C: E05D1000 800300B2
	v_mfma_scale_f32_16x16x128_f8f6f4 a[52:55], v[120:123], v[12:15], a[52:55], v175, v168 op_sel_hi:[0,0,0] cbsz:4 blgp:4// 000000004C14: D3AC7000 000351AF D3AD8C34 84D21978
	v_mfma_scale_f32_16x16x128_f8f6f4 a[56:59], v[124:127], v[8:11], a[56:59], v175, v168 op_sel_hi:[0,0,0] cbsz:4 blgp:4// 000000004C24: D3AC6800 000351AF D3AD8C38 84E2117C
	s_add_u32 m0, 0x3180, s64                                  // 000000004C34: 807C40FF 00003180
	buffer_load_dwordx4 v179, s[12:15], 0 offen lds            // 000000004C3C: E05D1000 800300B3
	v_mfma_scale_f32_16x16x128_f8f6f4 a[60:63], v[124:127], v[12:15], a[60:63], v175, v168 op_sel_hi:[0,0,0] cbsz:4 blgp:4// 000000004C44: D3AC7800 000351AF D3AD8C3C 84F2197C
	s_add_u32 s62, 0x200, s60                                  // 000000004C54: 803E3CFF 00000200
	s_cmp_lt_u32 s62, s61                                      // 000000004C5C: BF0A3D3E
	v_mfma_scale_f32_16x16x128_f8f6f4 a[48:51], v[128:131], v[16:19], a[48:51], v175, v168 op_sel_hi:[0,0,0] cbsz:4 blgp:4// 000000004C60: D3AC6000 180351AF D3AD8C30 84C22180
	s_cselect_b32 s66, s66, 0                                  // 000000004C70: 85428042
	buffer_load_dwordx4 v[72:75], v184, s[16:19], 0 offen      // 000000004C74: E05C1000 800448B8
	v_mfma_scale_f32_16x16x128_f8f6f4 a[52:55], v[128:131], v[20:23], a[52:55], v175, v168 op_sel_hi:[0,0,0] cbsz:4 blgp:4// 000000004C7C: D3AC7000 180351AF D3AD8C34 84D22980
	s_cselect_b32 s68, s68, 0                                  // 000000004C8C: 85448044
	s_add_u32 s12, s12, s66                                    // 000000004C90: 800C420C
	v_mfma_scale_f32_16x16x128_f8f6f4 a[56:59], v[132:135], v[16:19], a[56:59], v175, v168 op_sel_hi:[0,0,0] cbsz:4 blgp:4// 000000004C94: D3AC2800 180351AF D3AD8C38 84E22184
	s_addc_u32 s13, 0, s13                                     // 000000004CA4: 820D0D80
	buffer_load_dwordx4 v[76:79], v185, s[16:19], 0 offen      // 000000004CA8: E05C1000 80044CB9
	v_mfma_scale_f32_16x16x128_f8f6f4 a[60:63], v[132:135], v[20:23], a[60:63], v175, v168 op_sel_hi:[0,0,0] cbsz:4 blgp:4// 000000004CB0: D3AC1800 180351AF D3AD8C3C 84F22984
	s_sub_u32 s14, s14, s66                                    // 000000004CC0: 808E420E
	s_add_u32 s20, s20, s68                                    // 000000004CC4: 80144414
	v_mfma_scale_f32_16x16x128_f8f6f4 a[144:147], v[120:123], v[24:27], a[144:147], v175, v169 op_sel_hi:[0,0,0] cbsz:4 blgp:4// 000000004CC8: D3AC6000 000353AF D3AD8C90 86423178
	s_addc_u32 s21, 0, s21                                     // 000000004CD8: 82151580
	buffer_load_dwordx4 v[80:83], v184, s[16:19], 0 offen offset:1024// 000000004CDC: E05C1400 800450B8
	v_mfma_scale_f32_16x16x128_f8f6f4 a[148:151], v[120:123], v[28:31], a[148:151], v175, v169 op_sel_hi:[0,0,0] cbsz:4 blgp:4// 000000004CE4: D3AC7000 000353AF D3AD8C94 86523978
	s_sub_u32 s22, s22, s68                                    // 000000004CF4: 80964416
	v_mfma_scale_f32_16x16x128_f8f6f4 a[152:155], v[124:127], v[24:27], a[152:155], v175, v169 op_sel_hi:[0,0,0] cbsz:4 blgp:4// 000000004CF8: D3AC6800 000353AF D3AD8C98 8662317C
	buffer_load_dwordx4 v[84:87], v185, s[16:19], 0 offen offset:1024// 000000004D08: E05C1400 800454B9
	v_mfma_scale_f32_16x16x128_f8f6f4 a[156:159], v[124:127], v[28:31], a[156:159], v175, v169 op_sel_hi:[0,0,0] cbsz:4 blgp:4// 000000004D10: D3AC7800 000353AF D3AD8C9C 8672397C
	v_mfma_scale_f32_16x16x128_f8f6f4 a[144:147], v[128:131], v[32:35], a[144:147], v175, v169 op_sel_hi:[0,0,0] cbsz:4 blgp:4// 000000004D20: D3AC6000 180353AF D3AD8C90 86424180
	buffer_load_dword v172, v196, s[24:27], 0 offen            // 000000004D30: E0501000 8006ACC4
	v_mfma_scale_f32_16x16x128_f8f6f4 a[148:151], v[128:131], v[36:39], a[148:151], v175, v169 op_sel_hi:[0,0,0] cbsz:4 blgp:4// 000000004D38: D3AC7000 180353AF D3AD8C94 86524980
	v_mfma_scale_f32_16x16x128_f8f6f4 a[152:155], v[132:135], v[32:35], a[152:155], v175, v169 op_sel_hi:[0,0,0] cbsz:4 blgp:4// 000000004D48: D3AC6800 180353AF D3AD8C98 86624184
	v_mfma_scale_f32_16x16x128_f8f6f4 a[156:159], v[132:135], v[36:39], a[156:159], v175, v169 op_sel_hi:[0,0,0] cbsz:4 blgp:4// 000000004D58: D3AC7800 180353AF D3AD8C9C 86724984
	s_waitcnt vmcnt(13)                                        // 000000004D68: BF8C0F7D
	v_mfma_scale_f32_16x16x128_f8f6f4 a[64:67], v[136:139], v[8:11], a[64:67], v176, v168 op_sel_hi:[0,0,0] cbsz:4 blgp:4// 000000004D6C: D3AC6000 000351B0 D3AD8C40 85021188
	buffer_load_dwordx4 v[88:91], v186, s[16:19], 0 offen      // 000000004D7C: E05C1000 800458BA
	v_mfma_scale_f32_16x16x128_f8f6f4 a[68:71], v[136:139], v[12:15], a[68:71], v176, v168 op_sel_hi:[0,0,0] cbsz:4 blgp:4// 000000004D84: D3AC7000 000351B0 D3AD8C44 85121988
	v_mfma_scale_f32_16x16x128_f8f6f4 a[72:75], v[140:143], v[8:11], a[72:75], v176, v168 op_sel_hi:[0,0,0] cbsz:4 blgp:4// 000000004D94: D3AC6800 000351B0 D3AD8C48 8522118C
	buffer_load_dwordx4 v[92:95], v187, s[16:19], 0 offen      // 000000004DA4: E05C1000 80045CBB
	v_mfma_scale_f32_16x16x128_f8f6f4 a[76:79], v[140:143], v[12:15], a[76:79], v176, v168 op_sel_hi:[0,0,0] cbsz:4 blgp:4// 000000004DAC: D3AC7800 000351B0 D3AD8C4C 8532198C
	v_mfma_scale_f32_16x16x128_f8f6f4 a[64:67], v[144:147], v[16:19], a[64:67], v176, v168 op_sel_hi:[0,0,0] cbsz:4 blgp:4// 000000004DBC: D3AC6000 180351B0 D3AD8C40 85022190
	buffer_load_dwordx4 v[96:99], v186, s[16:19], 0 offen offset:1024// 000000004DCC: E05C1400 800460BA
	v_mfma_scale_f32_16x16x128_f8f6f4 a[68:71], v[144:147], v[20:23], a[68:71], v176, v168 op_sel_hi:[0,0,0] cbsz:4 blgp:4// 000000004DD4: D3AC7000 180351B0 D3AD8C44 85122990
	v_mfma_scale_f32_16x16x128_f8f6f4 a[72:75], v[148:151], v[16:19], a[72:75], v176, v168 op_sel_hi:[0,0,0] cbsz:4 blgp:4// 000000004DE4: D3AC6800 180351B0 D3AD8C48 85222194
	buffer_load_dwordx4 v[100:103], v187, s[16:19], 0 offen offset:1024// 000000004DF4: E05C1400 800464BB
	v_mfma_scale_f32_16x16x128_f8f6f4 a[76:79], v[148:151], v[20:23], a[76:79], v176, v168 op_sel_hi:[0,0,0] cbsz:4 blgp:4// 000000004DFC: D3AC7800 180351B0 D3AD8C4C 85322994
	v_mfma_scale_f32_16x16x128_f8f6f4 a[160:163], v[136:139], v[24:27], a[160:163], v176, v169 op_sel_hi:[0,0,0] cbsz:4 blgp:4// 000000004E0C: D3AC6000 000353B0 D3AD8CA0 86823188
	buffer_load_dword v173, v197, s[24:27], 0 offen            // 000000004E1C: E0501000 8006ADC5
	v_mfma_scale_f32_16x16x128_f8f6f4 a[164:167], v[136:139], v[28:31], a[164:167], v176, v169 op_sel_hi:[0,0,0] cbsz:4 blgp:4// 000000004E24: D3AC7000 000353B0 D3AD8CA4 86923988
	v_mfma_scale_f32_16x16x128_f8f6f4 a[168:171], v[140:143], v[24:27], a[168:171], v176, v169 op_sel_hi:[0,0,0] cbsz:4 blgp:4// 000000004E34: D3AC6800 000353B0 D3AD8CA8 86A2318C
	v_mfma_scale_f32_16x16x128_f8f6f4 a[172:175], v[140:143], v[28:31], a[172:175], v176, v169 op_sel_hi:[0,0,0] cbsz:4 blgp:4// 000000004E44: D3AC7800 000353B0 D3AD8CAC 86B2398C
	v_mfma_scale_f32_16x16x128_f8f6f4 a[160:163], v[144:147], v[32:35], a[160:163], v176, v169 op_sel_hi:[0,0,0] cbsz:4 blgp:4// 000000004E54: D3AC6000 180353B0 D3AD8CA0 86824190
	v_mfma_scale_f32_16x16x128_f8f6f4 a[164:167], v[144:147], v[36:39], a[164:167], v176, v169 op_sel_hi:[0,0,0] cbsz:4 blgp:4// 000000004E64: D3AC7000 180353B0 D3AD8CA4 86924990
	v_mfma_scale_f32_16x16x128_f8f6f4 a[168:171], v[148:151], v[32:35], a[168:171], v176, v169 op_sel_hi:[0,0,0] cbsz:4 blgp:4// 000000004E74: D3AC6800 180353B0 D3AD8CA8 86A24194
	v_mfma_scale_f32_16x16x128_f8f6f4 a[172:175], v[148:151], v[36:39], a[172:175], v176, v169 op_sel_hi:[0,0,0] cbsz:4 blgp:4// 000000004E84: D3AC7800 180353B0 D3AD8CAC 86B24994
	s_waitcnt vmcnt(10)                                        // 000000004E94: BF8C0F7A
	s_barrier                                                  // 000000004E98: BF8A0000
	v_mfma_scale_f32_16x16x128_f8f6f4 a[80:83], v[152:155], v[8:11], a[80:83], v177, v168 op_sel_hi:[0,0,0] cbsz:4 blgp:4// 000000004E9C: D3AC6000 000351B1 D3AD8C50 85421198
	s_addk_i32 s60, 0x100                                      // 000000004EAC: B73C0100
	buffer_load_dwordx4 v[104:107], v188, s[16:19], 0 offen    // 000000004EB0: E05C1000 800468BC
	v_mfma_scale_f32_16x16x128_f8f6f4 a[84:87], v[152:155], v[12:15], a[84:87], v177, v168 op_sel_hi:[0,0,0] cbsz:4 blgp:4// 000000004EB8: D3AC7000 000351B1 D3AD8C54 85521998
	s_cmp_lt_i32 s60, s61                                      // 000000004EC8: BF043D3C
	ds_read_b128 v[40:43], v181                                // 000000004ECC: D9FE0000 280000B5
	v_mfma_scale_f32_16x16x128_f8f6f4 a[88:91], v[156:159], v[8:11], a[88:91], v177, v168 op_sel_hi:[0,0,0] cbsz:4 blgp:4// 000000004ED4: D3AC6800 000351B1 D3AD8C58 8562119C
	buffer_load_dwordx4 v[108:111], v189, s[16:19], 0 offen    // 000000004EE4: E05C1000 80046CBD
	v_mfma_scale_f32_16x16x128_f8f6f4 a[92:95], v[156:159], v[12:15], a[92:95], v177, v168 op_sel_hi:[0,0,0] cbsz:4 blgp:4// 000000004EEC: D3AC7800 000351B1 D3AD8C5C 8572199C
	ds_read_b128 v[48:51], v181 offset:64                      // 000000004EFC: D9FE0040 300000B5
	v_mfma_scale_f32_16x16x128_f8f6f4 a[80:83], v[160:163], v[16:19], a[80:83], v177, v168 op_sel_hi:[0,0,0] cbsz:4 blgp:4// 000000004F04: D3AC6000 180351B1 D3AD8C50 854221A0
	buffer_load_dwordx4 v[112:115], v188, s[16:19], 0 offen offset:1024// 000000004F14: E05C1400 800470BC
	v_mfma_scale_f32_16x16x128_f8f6f4 a[84:87], v[160:163], v[20:23], a[84:87], v177, v168 op_sel_hi:[0,0,0] cbsz:4 blgp:4// 000000004F1C: D3AC7000 180351B1 D3AD8C54 855229A0
	ds_read_b128 v[44:47], v181 offset:512                     // 000000004F2C: D9FE0200 2C0000B5
	v_mfma_scale_f32_16x16x128_f8f6f4 a[88:91], v[164:167], v[16:19], a[88:91], v177, v168 op_sel_hi:[0,0,0] cbsz:4 blgp:4// 000000004F34: D3AC6800 180351B1 D3AD8C58 856221A4
	buffer_load_dwordx4 v[116:119], v189, s[16:19], 0 offen offset:1024// 000000004F44: E05C1400 800474BD
	v_mfma_scale_f32_16x16x128_f8f6f4 a[92:95], v[164:167], v[20:23], a[92:95], v177, v168 op_sel_hi:[0,0,0] cbsz:4 blgp:4// 000000004F4C: D3AC7800 180351B1 D3AD8C5C 857229A4
	ds_read_b128 v[52:55], v181 offset:576                     // 000000004F5C: D9FE0240 340000B5
	ds_read_b32 v170, v183 offset:1024                         // 000000004F64: D86C0400 AA0000B7
	v_mfma_scale_f32_16x16x128_f8f6f4 a[176:179], v[152:155], v[24:27], a[176:179], v177, v169 op_sel_hi:[0,0,0] cbsz:4 blgp:4// 000000004F6C: D3AC6000 000353B1 D3AD8CB0 86C23198
	buffer_load_dword v174, v198, s[24:27], 0 offen            // 000000004F7C: E0501000 8006AEC6
	v_mfma_scale_f32_16x16x128_f8f6f4 a[180:183], v[152:155], v[28:31], a[180:183], v177, v169 op_sel_hi:[0,0,0] cbsz:4 blgp:4// 000000004F84: D3AC7000 000353B1 D3AD8CB4 86D23998
	ds_read_b128 v[56:59], v181 offset:4224                    // 000000004F94: D9FE1080 380000B5
	v_mfma_scale_f32_16x16x128_f8f6f4 a[184:187], v[156:159], v[24:27], a[184:187], v177, v169 op_sel_hi:[0,0,0] cbsz:4 blgp:4// 000000004F9C: D3AC6800 000353B1 D3AD8CB8 86E2319C
	v_mfma_scale_f32_16x16x128_f8f6f4 a[188:191], v[156:159], v[28:31], a[188:191], v177, v169 op_sel_hi:[0,0,0] cbsz:4 blgp:4// 000000004FAC: D3AC7800 000353B1 D3AD8CBC 86F2399C
	ds_read_b128 v[64:67], v181 offset:4288                    // 000000004FBC: D9FE10C0 400000B5
	v_mfma_scale_f32_16x16x128_f8f6f4 a[176:179], v[160:163], v[32:35], a[176:179], v177, v169 op_sel_hi:[0,0,0] cbsz:4 blgp:4// 000000004FC4: D3AC6000 180353B1 D3AD8CB0 86C241A0
	v_mfma_scale_f32_16x16x128_f8f6f4 a[180:183], v[160:163], v[36:39], a[180:183], v177, v169 op_sel_hi:[0,0,0] cbsz:4 blgp:4// 000000004FD4: D3AC7000 180353B1 D3AD8CB4 86D249A0
	ds_read_b128 v[60:63], v181 offset:4736                    // 000000004FE4: D9FE1280 3C0000B5
	v_mfma_scale_f32_16x16x128_f8f6f4 a[184:187], v[164:167], v[32:35], a[184:187], v177, v169 op_sel_hi:[0,0,0] cbsz:4 blgp:4// 000000004FEC: D3AC6800 180353B1 D3AD8CB8 86E241A4
	v_mfma_scale_f32_16x16x128_f8f6f4 a[188:191], v[164:167], v[36:39], a[188:191], v177, v169 op_sel_hi:[0,0,0] cbsz:4 blgp:4// 000000004FFC: D3AC7800 180353B1 D3AD8CBC 86F249A4
	ds_read_b128 v[68:71], v181 offset:4800                    // 00000000500C: D9FE12C0 440000B5
	ds_read_b32 v171, v183 offset:1280                         // 000000005014: D86C0500 AB0000B7
	s_cbranch_scc0 label_0B04                                  // 00000000501C: BF8401FC
	s_waitcnt vmcnt(10) lgkmcnt(5)                             // 000000005020: BF8C057A
	v_mfma_scale_f32_16x16x128_f8f6f4 a[0:3], v[72:75], v[40:43], a[0:3], v172, v170 op_sel_hi:[0,0,0] cbsz:4 blgp:4// 000000005024: D3AC6000 000355AC D3AD8C00 84025148
	buffer_load_dwordx4 v[120:123], v190, s[16:19], 0 offen    // 000000005034: E05C1000 800478BE
	v_mfma_scale_f32_16x16x128_f8f6f4 a[4:7], v[72:75], v[44:47], a[4:7], v172, v170 op_sel_hi:[0,0,0] cbsz:4 blgp:4// 00000000503C: D3AC7000 000355AC D3AD8C04 84125948
	v_mfma_scale_f32_16x16x128_f8f6f4 a[8:11], v[76:79], v[40:43], a[8:11], v172, v170 op_sel_hi:[0,0,0] cbsz:4 blgp:4// 00000000504C: D3AC6800 000355AC D3AD8C08 8422514C
	buffer_load_dwordx4 v[124:127], v191, s[16:19], 0 offen    // 00000000505C: E05C1000 80047CBF
	v_mfma_scale_f32_16x16x128_f8f6f4 a[12:15], v[76:79], v[44:47], a[12:15], v172, v170 op_sel_hi:[0,0,0] cbsz:4 blgp:4// 000000005064: D3AC7800 000355AC D3AD8C0C 8432594C
	v_mfma_scale_f32_16x16x128_f8f6f4 a[0:3], v[80:83], v[48:51], a[0:3], v172, v170 op_sel_hi:[0,0,0] cbsz:4 blgp:4// 000000005074: D3AC6000 180355AC D3AD8C00 84026150
	buffer_load_dwordx4 v[128:131], v190, s[16:19], 0 offen offset:1024// 000000005084: E05C1400 800480BE
	v_mfma_scale_f32_16x16x128_f8f6f4 a[4:7], v[80:83], v[52:55], a[4:7], v172, v170 op_sel_hi:[0,0,0] cbsz:4 blgp:4// 00000000508C: D3AC7000 180355AC D3AD8C04 84126950
	v_mfma_scale_f32_16x16x128_f8f6f4 a[8:11], v[84:87], v[48:51], a[8:11], v172, v170 op_sel_hi:[0,0,0] cbsz:4 blgp:4// 00000000509C: D3AC6800 180355AC D3AD8C08 84226154
	buffer_load_dwordx4 v[132:135], v191, s[16:19], 0 offen offset:1024// 0000000050AC: E05C1400 800484BF
	v_mfma_scale_f32_16x16x128_f8f6f4 a[12:15], v[84:87], v[52:55], a[12:15], v172, v170 op_sel_hi:[0,0,0] cbsz:4 blgp:4// 0000000050B4: D3AC7800 180355AC D3AD8C0C 84326954
	s_waitcnt lgkmcnt(0)                                       // 0000000050C4: BF8CC07F
	v_mfma_scale_f32_16x16x128_f8f6f4 a[96:99], v[72:75], v[56:59], a[96:99], v172, v171 op_sel_hi:[0,0,0] cbsz:4 blgp:4// 0000000050C8: D3AC6000 000357AC D3AD8C60 85827148
	buffer_load_dword v175, v199, s[24:27], 0 offen            // 0000000050D8: E0501000 8006AFC7
	v_mfma_scale_f32_16x16x128_f8f6f4 a[100:103], v[72:75], v[60:63], a[100:103], v172, v171 op_sel_hi:[0,0,0] cbsz:4 blgp:4// 0000000050E0: D3AC7000 000357AC D3AD8C64 85927948
	v_mfma_scale_f32_16x16x128_f8f6f4 a[104:107], v[76:79], v[56:59], a[104:107], v172, v171 op_sel_hi:[0,0,0] cbsz:4 blgp:4// 0000000050F0: D3AC6800 000357AC D3AD8C68 85A2714C
	v_mfma_scale_f32_16x16x128_f8f6f4 a[108:111], v[76:79], v[60:63], a[108:111], v172, v171 op_sel_hi:[0,0,0] cbsz:4 blgp:4// 000000005100: D3AC7800 000357AC D3AD8C6C 85B2794C
	v_mfma_scale_f32_16x16x128_f8f6f4 a[96:99], v[80:83], v[64:67], a[96:99], v172, v171 op_sel_hi:[0,0,0] cbsz:4 blgp:4// 000000005110: D3AC6000 180357AC D3AD8C60 85828150
	v_mfma_scale_f32_16x16x128_f8f6f4 a[100:103], v[80:83], v[68:71], a[100:103], v172, v171 op_sel_hi:[0,0,0] cbsz:4 blgp:4// 000000005120: D3AC7000 180357AC D3AD8C64 85928950
	v_mfma_scale_f32_16x16x128_f8f6f4 a[104:107], v[84:87], v[64:67], a[104:107], v172, v171 op_sel_hi:[0,0,0] cbsz:4 blgp:4// 000000005130: D3AC6800 180357AC D3AD8C68 85A28154
	v_mfma_scale_f32_16x16x128_f8f6f4 a[108:111], v[84:87], v[68:71], a[108:111], v172, v171 op_sel_hi:[0,0,0] cbsz:4 blgp:4// 000000005140: D3AC7800 180357AC D3AD8C6C 85B28954
	s_waitcnt vmcnt(10)                                        // 000000005150: BF8C0F7A
	v_mfma_scale_f32_16x16x128_f8f6f4 a[16:19], v[88:91], v[40:43], a[16:19], v173, v170 op_sel_hi:[0,0,0] cbsz:4 blgp:4// 000000005154: D3AC6000 000355AD D3AD8C10 84425158
	buffer_load_dwordx4 v[136:139], v192, s[16:19], 0 offen    // 000000005164: E05C1000 800488C0
	v_mfma_scale_f32_16x16x128_f8f6f4 a[20:23], v[88:91], v[44:47], a[20:23], v173, v170 op_sel_hi:[0,0,0] cbsz:4 blgp:4// 00000000516C: D3AC7000 000355AD D3AD8C14 84525958
	v_mfma_scale_f32_16x16x128_f8f6f4 a[24:27], v[92:95], v[40:43], a[24:27], v173, v170 op_sel_hi:[0,0,0] cbsz:4 blgp:4// 00000000517C: D3AC6800 000355AD D3AD8C18 8462515C
	buffer_load_dwordx4 v[140:143], v193, s[16:19], 0 offen    // 00000000518C: E05C1000 80048CC1
	v_mfma_scale_f32_16x16x128_f8f6f4 a[28:31], v[92:95], v[44:47], a[28:31], v173, v170 op_sel_hi:[0,0,0] cbsz:4 blgp:4// 000000005194: D3AC7800 000355AD D3AD8C1C 8472595C
	v_mfma_scale_f32_16x16x128_f8f6f4 a[16:19], v[96:99], v[48:51], a[16:19], v173, v170 op_sel_hi:[0,0,0] cbsz:4 blgp:4// 0000000051A4: D3AC6000 180355AD D3AD8C10 84426160
	buffer_load_dwordx4 v[144:147], v192, s[16:19], 0 offen offset:1024// 0000000051B4: E05C1400 800490C0
	v_mfma_scale_f32_16x16x128_f8f6f4 a[20:23], v[96:99], v[52:55], a[20:23], v173, v170 op_sel_hi:[0,0,0] cbsz:4 blgp:4// 0000000051BC: D3AC7000 180355AD D3AD8C14 84526960
	v_mfma_scale_f32_16x16x128_f8f6f4 a[24:27], v[100:103], v[48:51], a[24:27], v173, v170 op_sel_hi:[0,0,0] cbsz:4 blgp:4// 0000000051CC: D3AC6800 180355AD D3AD8C18 84626164
	buffer_load_dwordx4 v[148:151], v193, s[16:19], 0 offen offset:1024// 0000000051DC: E05C1400 800494C1
	v_mfma_scale_f32_16x16x128_f8f6f4 a[28:31], v[100:103], v[52:55], a[28:31], v173, v170 op_sel_hi:[0,0,0] cbsz:4 blgp:4// 0000000051E4: D3AC7800 180355AD D3AD8C1C 84726964
	v_mfma_scale_f32_16x16x128_f8f6f4 a[112:115], v[88:91], v[56:59], a[112:115], v173, v171 op_sel_hi:[0,0,0] cbsz:4 blgp:4// 0000000051F4: D3AC6000 000357AD D3AD8C70 85C27158
	buffer_load_dword v176, v200, s[24:27], 0 offen            // 000000005204: E0501000 8006B0C8
	v_mfma_scale_f32_16x16x128_f8f6f4 a[116:119], v[88:91], v[60:63], a[116:119], v173, v171 op_sel_hi:[0,0,0] cbsz:4 blgp:4// 00000000520C: D3AC7000 000357AD D3AD8C74 85D27958
	v_mfma_scale_f32_16x16x128_f8f6f4 a[120:123], v[92:95], v[56:59], a[120:123], v173, v171 op_sel_hi:[0,0,0] cbsz:4 blgp:4// 00000000521C: D3AC6800 000357AD D3AD8C78 85E2715C
	v_mfma_scale_f32_16x16x128_f8f6f4 a[124:127], v[92:95], v[60:63], a[124:127], v173, v171 op_sel_hi:[0,0,0] cbsz:4 blgp:4// 00000000522C: D3AC7800 000357AD D3AD8C7C 85F2795C
	v_mfma_scale_f32_16x16x128_f8f6f4 a[112:115], v[96:99], v[64:67], a[112:115], v173, v171 op_sel_hi:[0,0,0] cbsz:4 blgp:4// 00000000523C: D3AC6000 180357AD D3AD8C70 85C28160
	v_mfma_scale_f32_16x16x128_f8f6f4 a[116:119], v[96:99], v[68:71], a[116:119], v173, v171 op_sel_hi:[0,0,0] cbsz:4 blgp:4// 00000000524C: D3AC7000 180357AD D3AD8C74 85D28960
	v_mfma_scale_f32_16x16x128_f8f6f4 a[120:123], v[100:103], v[64:67], a[120:123], v173, v171 op_sel_hi:[0,0,0] cbsz:4 blgp:4// 00000000525C: D3AC6800 180357AD D3AD8C78 85E28164
	v_mfma_scale_f32_16x16x128_f8f6f4 a[124:127], v[100:103], v[68:71], a[124:127], v173, v171 op_sel_hi:[0,0,0] cbsz:4 blgp:4// 00000000526C: D3AC7800 180357AD D3AD8C7C 85F28964
	s_waitcnt vmcnt(10)                                        // 00000000527C: BF8C0F7A
	v_mfma_scale_f32_16x16x128_f8f6f4 a[32:35], v[104:107], v[40:43], a[32:35], v174, v170 op_sel_hi:[0,0,0] cbsz:4 blgp:4// 000000005280: D3AC6000 000355AE D3AD8C20 84825168
	s_add_u32 s63, 0x100, s60                                  // 000000005290: 803F3CFF 00000100
	buffer_load_dwordx4 v[152:155], v194, s[16:19], 0 offen    // 000000005298: E05C1000 800498C2
	v_mfma_scale_f32_16x16x128_f8f6f4 a[36:39], v[104:107], v[44:47], a[36:39], v174, v170 op_sel_hi:[0,0,0] cbsz:4 blgp:4// 0000000052A0: D3AC7000 000355AE D3AD8C24 84925968
	s_cmp_lt_u32 s63, s61                                      // 0000000052B0: BF0A3D3F
	s_cselect_b32 s67, s67, 0                                  // 0000000052B4: 85438043
	v_mfma_scale_f32_16x16x128_f8f6f4 a[40:43], v[108:111], v[40:43], a[40:43], v174, v170 op_sel_hi:[0,0,0] cbsz:4 blgp:4// 0000000052B8: D3AC6800 000355AE D3AD8C28 84A2516C
	s_cselect_b32 s69, s69, 0                                  // 0000000052C8: 85458045
	buffer_load_dwordx4 v[156:159], v195, s[16:19], 0 offen    // 0000000052CC: E05C1000 80049CC3
	v_mfma_scale_f32_16x16x128_f8f6f4 a[44:47], v[108:111], v[44:47], a[44:47], v174, v170 op_sel_hi:[0,0,0] cbsz:4 blgp:4// 0000000052D4: D3AC7800 000355AE D3AD8C2C 84B2596C
	v_mfma_scale_f32_16x16x128_f8f6f4 a[32:35], v[112:115], v[48:51], a[32:35], v174, v170 op_sel_hi:[0,0,0] cbsz:4 blgp:4// 0000000052E4: D3AC6000 180355AE D3AD8C20 84826170
	buffer_load_dwordx4 v[160:163], v194, s[16:19], 0 offen offset:1024// 0000000052F4: E05C1400 8004A0C2
	v_mfma_scale_f32_16x16x128_f8f6f4 a[36:39], v[112:115], v[52:55], a[36:39], v174, v170 op_sel_hi:[0,0,0] cbsz:4 blgp:4// 0000000052FC: D3AC7000 180355AE D3AD8C24 84926970
	v_mfma_scale_f32_16x16x128_f8f6f4 a[40:43], v[116:119], v[48:51], a[40:43], v174, v170 op_sel_hi:[0,0,0] cbsz:4 blgp:4// 00000000530C: D3AC6800 180355AE D3AD8C28 84A26174
	buffer_load_dwordx4 v[164:167], v195, s[16:19], 0 offen offset:1024// 00000000531C: E05C1400 8004A4C3
	v_mfma_scale_f32_16x16x128_f8f6f4 a[44:47], v[116:119], v[52:55], a[44:47], v174, v170 op_sel_hi:[0,0,0] cbsz:4 blgp:4// 000000005324: D3AC7800 180355AE D3AD8C2C 84B26974
	v_mfma_scale_f32_16x16x128_f8f6f4 a[128:131], v[104:107], v[56:59], a[128:131], v174, v171 op_sel_hi:[0,0,0] cbsz:4 blgp:4// 000000005334: D3AC6000 000357AE D3AD8C80 86027168
	buffer_load_dword v177, v201, s[24:27], 0 offen            // 000000005344: E0501000 8006B1C9
	v_mfma_scale_f32_16x16x128_f8f6f4 a[132:135], v[104:107], v[60:63], a[132:135], v174, v171 op_sel_hi:[0,0,0] cbsz:4 blgp:4// 00000000534C: D3AC7000 000357AE D3AD8C84 86127968
	s_add_u32 s16, s16, s67                                    // 00000000535C: 80104310
	s_addc_u32 s17, 0, s17                                     // 000000005360: 82111180
	v_mfma_scale_f32_16x16x128_f8f6f4 a[136:139], v[108:111], v[56:59], a[136:139], v174, v171 op_sel_hi:[0,0,0] cbsz:4 blgp:4// 000000005364: D3AC6800 000357AE D3AD8C88 8622716C
	s_sub_u32 s18, s18, s67                                    // 000000005374: 80924312
	s_add_u32 s24, s24, s69                                    // 000000005378: 80184518
	v_mfma_scale_f32_16x16x128_f8f6f4 a[140:143], v[108:111], v[60:63], a[140:143], v174, v171 op_sel_hi:[0,0,0] cbsz:4 blgp:4// 00000000537C: D3AC7800 000357AE D3AD8C8C 8632796C
	s_addc_u32 s25, 0, s25                                     // 00000000538C: 82191980
	s_sub_u32 s26, s26, s69                                    // 000000005390: 809A451A
	v_mfma_scale_f32_16x16x128_f8f6f4 a[128:131], v[112:115], v[64:67], a[128:131], v174, v171 op_sel_hi:[0,0,0] cbsz:4 blgp:4// 000000005394: D3AC6000 180357AE D3AD8C80 86028170
	s_add_u32 m0, 0, s65                                       // 0000000053A4: 807C4180
	buffer_load_dword v182, s[20:23], 0 offen lds              // 0000000053A8: E0511000 800500B6
	v_mfma_scale_f32_16x16x128_f8f6f4 a[132:135], v[112:115], v[68:71], a[132:135], v174, v171 op_sel_hi:[0,0,0] cbsz:4 blgp:4// 0000000053B0: D3AC7000 180357AE D3AD8C84 86128970
	v_mfma_scale_f32_16x16x128_f8f6f4 a[136:139], v[116:119], v[64:67], a[136:139], v174, v171 op_sel_hi:[0,0,0] cbsz:4 blgp:4// 0000000053C0: D3AC6800 180357AE D3AD8C88 86228174
	v_mfma_scale_f32_16x16x128_f8f6f4 a[140:143], v[116:119], v[68:71], a[140:143], v174, v171 op_sel_hi:[0,0,0] cbsz:4 blgp:4// 0000000053D0: D3AC7800 180357AE D3AD8C8C 86328974
	s_waitcnt vmcnt(11)                                        // 0000000053E0: BF8C0F7B
	v_mfma_scale_f32_16x16x128_f8f6f4 a[48:51], v[120:123], v[40:43], a[48:51], v175, v170 op_sel_hi:[0,0,0] cbsz:4 blgp:4// 0000000053E4: D3AC6000 000355AF D3AD8C30 84C25178
	s_add_u32 m0, 0, s64                                       // 0000000053F4: 807C4080
	buffer_load_dwordx4 v178, s[12:15], 0 offen lds            // 0000000053F8: E05D1000 800300B2
	v_mfma_scale_f32_16x16x128_f8f6f4 a[52:55], v[120:123], v[44:47], a[52:55], v175, v170 op_sel_hi:[0,0,0] cbsz:4 blgp:4// 000000005400: D3AC7000 000355AF D3AD8C34 84D25978
	v_mfma_scale_f32_16x16x128_f8f6f4 a[56:59], v[124:127], v[40:43], a[56:59], v175, v170 op_sel_hi:[0,0,0] cbsz:4 blgp:4// 000000005410: D3AC6800 000355AF D3AD8C38 84E2517C
	s_add_u32 m0, 0x1080, s64                                  // 000000005420: 807C40FF 00001080
	buffer_load_dwordx4 v179, s[12:15], 0 offen lds            // 000000005428: E05D1000 800300B3
	v_mfma_scale_f32_16x16x128_f8f6f4 a[60:63], v[124:127], v[44:47], a[60:63], v175, v170 op_sel_hi:[0,0,0] cbsz:4 blgp:4// 000000005430: D3AC7800 000355AF D3AD8C3C 84F2597C
	s_add_u32 s62, 0x200, s60                                  // 000000005440: 803E3CFF 00000200
	s_cmp_lt_u32 s62, s61                                      // 000000005448: BF0A3D3E
	v_mfma_scale_f32_16x16x128_f8f6f4 a[48:51], v[128:131], v[48:51], a[48:51], v175, v170 op_sel_hi:[0,0,0] cbsz:4 blgp:4// 00000000544C: D3AC6000 180355AF D3AD8C30 84C26180
	s_cselect_b32 s66, s66, 0                                  // 00000000545C: 85428042
	buffer_load_dwordx4 v[72:75], v184, s[16:19], 0 offen      // 000000005460: E05C1000 800448B8
	v_mfma_scale_f32_16x16x128_f8f6f4 a[52:55], v[128:131], v[52:55], a[52:55], v175, v170 op_sel_hi:[0,0,0] cbsz:4 blgp:4// 000000005468: D3AC7000 180355AF D3AD8C34 84D26980
	s_cselect_b32 s68, s68, 0                                  // 000000005478: 85448044
	s_add_u32 s12, s12, s66                                    // 00000000547C: 800C420C
	v_mfma_scale_f32_16x16x128_f8f6f4 a[56:59], v[132:135], v[48:51], a[56:59], v175, v170 op_sel_hi:[0,0,0] cbsz:4 blgp:4// 000000005480: D3AC6800 180355AF D3AD8C38 84E26184
	s_addc_u32 s13, 0, s13                                     // 000000005490: 820D0D80
	buffer_load_dwordx4 v[76:79], v185, s[16:19], 0 offen      // 000000005494: E05C1000 80044CB9
	v_mfma_scale_f32_16x16x128_f8f6f4 a[60:63], v[132:135], v[52:55], a[60:63], v175, v170 op_sel_hi:[0,0,0] cbsz:4 blgp:4// 00000000549C: D3AC7800 180355AF D3AD8C3C 84F26984
	s_sub_u32 s14, s14, s66                                    // 0000000054AC: 808E420E
	s_add_u32 s20, s20, s68                                    // 0000000054B0: 80144414
	v_mfma_scale_f32_16x16x128_f8f6f4 a[144:147], v[120:123], v[56:59], a[144:147], v175, v171 op_sel_hi:[0,0,0] cbsz:4 blgp:4// 0000000054B4: D3AC6000 000357AF D3AD8C90 86427178
	s_addc_u32 s21, 0, s21                                     // 0000000054C4: 82151580
	buffer_load_dwordx4 v[80:83], v184, s[16:19], 0 offen offset:1024// 0000000054C8: E05C1400 800450B8
	v_mfma_scale_f32_16x16x128_f8f6f4 a[148:151], v[120:123], v[60:63], a[148:151], v175, v171 op_sel_hi:[0,0,0] cbsz:4 blgp:4// 0000000054D0: D3AC7000 000357AF D3AD8C94 86527978
	s_sub_u32 s22, s22, s68                                    // 0000000054E0: 80964416
	v_mfma_scale_f32_16x16x128_f8f6f4 a[152:155], v[124:127], v[56:59], a[152:155], v175, v171 op_sel_hi:[0,0,0] cbsz:4 blgp:4// 0000000054E4: D3AC6800 000357AF D3AD8C98 8662717C
	buffer_load_dwordx4 v[84:87], v185, s[16:19], 0 offen offset:1024// 0000000054F4: E05C1400 800454B9
	v_mfma_scale_f32_16x16x128_f8f6f4 a[156:159], v[124:127], v[60:63], a[156:159], v175, v171 op_sel_hi:[0,0,0] cbsz:4 blgp:4// 0000000054FC: D3AC7800 000357AF D3AD8C9C 8672797C
	v_mfma_scale_f32_16x16x128_f8f6f4 a[144:147], v[128:131], v[64:67], a[144:147], v175, v171 op_sel_hi:[0,0,0] cbsz:4 blgp:4// 00000000550C: D3AC6000 180357AF D3AD8C90 86428180
	buffer_load_dword v172, v196, s[24:27], 0 offen            // 00000000551C: E0501000 8006ACC4
	v_mfma_scale_f32_16x16x128_f8f6f4 a[148:151], v[128:131], v[68:71], a[148:151], v175, v171 op_sel_hi:[0,0,0] cbsz:4 blgp:4// 000000005524: D3AC7000 180357AF D3AD8C94 86528980
	v_mfma_scale_f32_16x16x128_f8f6f4 a[152:155], v[132:135], v[64:67], a[152:155], v175, v171 op_sel_hi:[0,0,0] cbsz:4 blgp:4// 000000005534: D3AC6800 180357AF D3AD8C98 86628184
	v_mfma_scale_f32_16x16x128_f8f6f4 a[156:159], v[132:135], v[68:71], a[156:159], v175, v171 op_sel_hi:[0,0,0] cbsz:4 blgp:4// 000000005544: D3AC7800 180357AF D3AD8C9C 86728984
	s_waitcnt vmcnt(13)                                        // 000000005554: BF8C0F7D
	v_mfma_scale_f32_16x16x128_f8f6f4 a[64:67], v[136:139], v[40:43], a[64:67], v176, v170 op_sel_hi:[0,0,0] cbsz:4 blgp:4// 000000005558: D3AC6000 000355B0 D3AD8C40 85025188
	buffer_load_dwordx4 v[88:91], v186, s[16:19], 0 offen      // 000000005568: E05C1000 800458BA
	v_mfma_scale_f32_16x16x128_f8f6f4 a[68:71], v[136:139], v[44:47], a[68:71], v176, v170 op_sel_hi:[0,0,0] cbsz:4 blgp:4// 000000005570: D3AC7000 000355B0 D3AD8C44 85125988
	v_mfma_scale_f32_16x16x128_f8f6f4 a[72:75], v[140:143], v[40:43], a[72:75], v176, v170 op_sel_hi:[0,0,0] cbsz:4 blgp:4// 000000005580: D3AC6800 000355B0 D3AD8C48 8522518C
	buffer_load_dwordx4 v[92:95], v187, s[16:19], 0 offen      // 000000005590: E05C1000 80045CBB
	v_mfma_scale_f32_16x16x128_f8f6f4 a[76:79], v[140:143], v[44:47], a[76:79], v176, v170 op_sel_hi:[0,0,0] cbsz:4 blgp:4// 000000005598: D3AC7800 000355B0 D3AD8C4C 8532598C
	v_mfma_scale_f32_16x16x128_f8f6f4 a[64:67], v[144:147], v[48:51], a[64:67], v176, v170 op_sel_hi:[0,0,0] cbsz:4 blgp:4// 0000000055A8: D3AC6000 180355B0 D3AD8C40 85026190
	buffer_load_dwordx4 v[96:99], v186, s[16:19], 0 offen offset:1024// 0000000055B8: E05C1400 800460BA
	v_mfma_scale_f32_16x16x128_f8f6f4 a[68:71], v[144:147], v[52:55], a[68:71], v176, v170 op_sel_hi:[0,0,0] cbsz:4 blgp:4// 0000000055C0: D3AC7000 180355B0 D3AD8C44 85126990
	v_mfma_scale_f32_16x16x128_f8f6f4 a[72:75], v[148:151], v[48:51], a[72:75], v176, v170 op_sel_hi:[0,0,0] cbsz:4 blgp:4// 0000000055D0: D3AC6800 180355B0 D3AD8C48 85226194
	buffer_load_dwordx4 v[100:103], v187, s[16:19], 0 offen offset:1024// 0000000055E0: E05C1400 800464BB
	v_mfma_scale_f32_16x16x128_f8f6f4 a[76:79], v[148:151], v[52:55], a[76:79], v176, v170 op_sel_hi:[0,0,0] cbsz:4 blgp:4// 0000000055E8: D3AC7800 180355B0 D3AD8C4C 85326994
	v_mfma_scale_f32_16x16x128_f8f6f4 a[160:163], v[136:139], v[56:59], a[160:163], v176, v171 op_sel_hi:[0,0,0] cbsz:4 blgp:4// 0000000055F8: D3AC6000 000357B0 D3AD8CA0 86827188
	buffer_load_dword v173, v197, s[24:27], 0 offen            // 000000005608: E0501000 8006ADC5
	v_mfma_scale_f32_16x16x128_f8f6f4 a[164:167], v[136:139], v[60:63], a[164:167], v176, v171 op_sel_hi:[0,0,0] cbsz:4 blgp:4// 000000005610: D3AC7000 000357B0 D3AD8CA4 86927988
	v_mfma_scale_f32_16x16x128_f8f6f4 a[168:171], v[140:143], v[56:59], a[168:171], v176, v171 op_sel_hi:[0,0,0] cbsz:4 blgp:4// 000000005620: D3AC6800 000357B0 D3AD8CA8 86A2718C
	v_mfma_scale_f32_16x16x128_f8f6f4 a[172:175], v[140:143], v[60:63], a[172:175], v176, v171 op_sel_hi:[0,0,0] cbsz:4 blgp:4// 000000005630: D3AC7800 000357B0 D3AD8CAC 86B2798C
	v_mfma_scale_f32_16x16x128_f8f6f4 a[160:163], v[144:147], v[64:67], a[160:163], v176, v171 op_sel_hi:[0,0,0] cbsz:4 blgp:4// 000000005640: D3AC6000 180357B0 D3AD8CA0 86828190
	v_mfma_scale_f32_16x16x128_f8f6f4 a[164:167], v[144:147], v[68:71], a[164:167], v176, v171 op_sel_hi:[0,0,0] cbsz:4 blgp:4// 000000005650: D3AC7000 180357B0 D3AD8CA4 86928990
	v_mfma_scale_f32_16x16x128_f8f6f4 a[168:171], v[148:151], v[64:67], a[168:171], v176, v171 op_sel_hi:[0,0,0] cbsz:4 blgp:4// 000000005660: D3AC6800 180357B0 D3AD8CA8 86A28194
	v_mfma_scale_f32_16x16x128_f8f6f4 a[172:175], v[148:151], v[68:71], a[172:175], v176, v171 op_sel_hi:[0,0,0] cbsz:4 blgp:4// 000000005670: D3AC7800 180357B0 D3AD8CAC 86B28994
	s_waitcnt vmcnt(10)                                        // 000000005680: BF8C0F7A
	s_barrier                                                  // 000000005684: BF8A0000
	v_mfma_scale_f32_16x16x128_f8f6f4 a[80:83], v[152:155], v[40:43], a[80:83], v177, v170 op_sel_hi:[0,0,0] cbsz:4 blgp:4// 000000005688: D3AC6000 000355B1 D3AD8C50 85425198
	s_addk_i32 s60, 0x100                                      // 000000005698: B73C0100
	buffer_load_dwordx4 v[104:107], v188, s[16:19], 0 offen    // 00000000569C: E05C1000 800468BC
	v_mfma_scale_f32_16x16x128_f8f6f4 a[84:87], v[152:155], v[44:47], a[84:87], v177, v170 op_sel_hi:[0,0,0] cbsz:4 blgp:4// 0000000056A4: D3AC7000 000355B1 D3AD8C54 85525998
	s_cmp_lt_i32 s60, s61                                      // 0000000056B4: BF043D3C
	ds_read_b128 v[8:11], v180                                 // 0000000056B8: D9FE0000 080000B4
	v_mfma_scale_f32_16x16x128_f8f6f4 a[88:91], v[156:159], v[40:43], a[88:91], v177, v170 op_sel_hi:[0,0,0] cbsz:4 blgp:4// 0000000056C0: D3AC6800 000355B1 D3AD8C58 8562519C
	buffer_load_dwordx4 v[108:111], v189, s[16:19], 0 offen    // 0000000056D0: E05C1000 80046CBD
	v_mfma_scale_f32_16x16x128_f8f6f4 a[92:95], v[156:159], v[44:47], a[92:95], v177, v170 op_sel_hi:[0,0,0] cbsz:4 blgp:4// 0000000056D8: D3AC7800 000355B1 D3AD8C5C 8572599C
	ds_read_b128 v[16:19], v180 offset:64                      // 0000000056E8: D9FE0040 100000B4
	v_mfma_scale_f32_16x16x128_f8f6f4 a[80:83], v[160:163], v[48:51], a[80:83], v177, v170 op_sel_hi:[0,0,0] cbsz:4 blgp:4// 0000000056F0: D3AC6000 180355B1 D3AD8C50 854261A0
	buffer_load_dwordx4 v[112:115], v188, s[16:19], 0 offen offset:1024// 000000005700: E05C1400 800470BC
	v_mfma_scale_f32_16x16x128_f8f6f4 a[84:87], v[160:163], v[52:55], a[84:87], v177, v170 op_sel_hi:[0,0,0] cbsz:4 blgp:4// 000000005708: D3AC7000 180355B1 D3AD8C54 855269A0
	ds_read_b128 v[12:15], v180 offset:512                     // 000000005718: D9FE0200 0C0000B4
	v_mfma_scale_f32_16x16x128_f8f6f4 a[88:91], v[164:167], v[48:51], a[88:91], v177, v170 op_sel_hi:[0,0,0] cbsz:4 blgp:4// 000000005720: D3AC6800 180355B1 D3AD8C58 856261A4
	buffer_load_dwordx4 v[116:119], v189, s[16:19], 0 offen offset:1024// 000000005730: E05C1400 800474BD
	v_mfma_scale_f32_16x16x128_f8f6f4 a[92:95], v[164:167], v[52:55], a[92:95], v177, v170 op_sel_hi:[0,0,0] cbsz:4 blgp:4// 000000005738: D3AC7800 180355B1 D3AD8C5C 857269A4
	ds_read_b128 v[20:23], v180 offset:576                     // 000000005748: D9FE0240 140000B4
	ds_read_b32 v168, v183                                     // 000000005750: D86C0000 A80000B7
	v_mfma_scale_f32_16x16x128_f8f6f4 a[176:179], v[152:155], v[56:59], a[176:179], v177, v171 op_sel_hi:[0,0,0] cbsz:4 blgp:4// 000000005758: D3AC6000 000357B1 D3AD8CB0 86C27198
	buffer_load_dword v174, v198, s[24:27], 0 offen            // 000000005768: E0501000 8006AEC6
	v_mfma_scale_f32_16x16x128_f8f6f4 a[180:183], v[152:155], v[60:63], a[180:183], v177, v171 op_sel_hi:[0,0,0] cbsz:4 blgp:4// 000000005770: D3AC7000 000357B1 D3AD8CB4 86D27998
	ds_read_b128 v[24:27], v180 offset:4224                    // 000000005780: D9FE1080 180000B4
	v_mfma_scale_f32_16x16x128_f8f6f4 a[184:187], v[156:159], v[56:59], a[184:187], v177, v171 op_sel_hi:[0,0,0] cbsz:4 blgp:4// 000000005788: D3AC6800 000357B1 D3AD8CB8 86E2719C
	v_mfma_scale_f32_16x16x128_f8f6f4 a[188:191], v[156:159], v[60:63], a[188:191], v177, v171 op_sel_hi:[0,0,0] cbsz:4 blgp:4// 000000005798: D3AC7800 000357B1 D3AD8CBC 86F2799C
	ds_read_b128 v[32:35], v180 offset:4288                    // 0000000057A8: D9FE10C0 200000B4
	v_mfma_scale_f32_16x16x128_f8f6f4 a[176:179], v[160:163], v[64:67], a[176:179], v177, v171 op_sel_hi:[0,0,0] cbsz:4 blgp:4// 0000000057B0: D3AC6000 180357B1 D3AD8CB0 86C281A0
	v_mfma_scale_f32_16x16x128_f8f6f4 a[180:183], v[160:163], v[68:71], a[180:183], v177, v171 op_sel_hi:[0,0,0] cbsz:4 blgp:4// 0000000057C0: D3AC7000 180357B1 D3AD8CB4 86D289A0
	ds_read_b128 v[28:31], v180 offset:4736                    // 0000000057D0: D9FE1280 1C0000B4
	v_mfma_scale_f32_16x16x128_f8f6f4 a[184:187], v[164:167], v[64:67], a[184:187], v177, v171 op_sel_hi:[0,0,0] cbsz:4 blgp:4// 0000000057D8: D3AC6800 180357B1 D3AD8CB8 86E281A4
	v_mfma_scale_f32_16x16x128_f8f6f4 a[188:191], v[164:167], v[68:71], a[188:191], v177, v171 op_sel_hi:[0,0,0] cbsz:4 blgp:4// 0000000057E8: D3AC7800 180357B1 D3AD8CBC 86F289A4
	ds_read_b128 v[36:39], v180 offset:4800                    // 0000000057F8: D9FE12C0 240000B4
	ds_read_b32 v169, v183 offset:256                          // 000000005800: D86C0100 A90000B7
	s_cbranch_scc0 label_0B04                                  // 000000005808: BF840001
	s_branch label_070B                                        // 00000000580C: BF82FC07

0000000000005810 <label_0B04>:
	s_waitcnt lgkmcnt(0)                                       // 000000005810: BF8CC07F
	s_mul_i32 s62, s47, 0x300                                  // 000000005814: 923EFF2F 00000300
	s_mul_i32 s63, s46, 0xc0                                   // 00000000581C: 923FFF2E 000000C0
	s_add_u32 s60, s62, s63                                    // 000000005824: 803C3F3E
	s_add_u32 s62, s60, 0xc0                                   // 000000005828: 803EFF3C 000000C0
	s_cmp_lt_i32 s44, s62                                      // 000000005830: BF043E2C
	s_cbranch_scc1 label_0E1A                                  // 000000005834: BF85030C
	s_mul_i32 s62, s36, 16                                     // 000000005838: 923E9024
	v_add_u32_e32 v206, 0, v202                                // 00000000583C: 699D9480
	v_accvgpr_read_b32 v8, a0                                  // 000000005840: D3D84008 18000100
	v_accvgpr_read_b32 v9, a1                                  // 000000005848: D3D84009 18000101
	v_accvgpr_read_b32 v10, a2                                 // 000000005850: D3D8400A 18000102
	v_accvgpr_read_b32 v11, a3                                 // 000000005858: D3D8400B 18000103
	v_accvgpr_read_b32 v12, a8                                 // 000000005860: D3D8400C 18000108
	v_accvgpr_read_b32 v13, a9                                 // 000000005868: D3D8400D 18000109
	v_accvgpr_read_b32 v14, a10                                // 000000005870: D3D8400E 1800010A
	v_accvgpr_read_b32 v15, a11                                // 000000005878: D3D8400F 1800010B
	v_cvt_pk_bf16_f32 v16, v8, v9                              // 000000005880: D2680010 00021308
	v_cvt_pk_bf16_f32 v17, v10, v11                            // 000000005888: D2680011 0002170A
	v_cvt_pk_bf16_f32 v18, v12, v13                            // 000000005890: D2680012 00021B0C
	v_cvt_pk_bf16_f32 v19, v14, v15                            // 000000005898: D2680013 00021F0E
	s_nop 1                                                    // 0000000058A0: BF800001
	v_permlane16_swap_b32_e32 v16, v18                         // 0000000058A4: 7E20B312
	s_nop 1                                                    // 0000000058A8: BF800001
	v_permlane16_swap_b32_e32 v17, v19                         // 0000000058AC: 7E22B313
	s_nop 1                                                    // 0000000058B0: BF800001
	buffer_store_dwordx4 v[16:19], v206, s[4:7], 0 offen       // 0000000058B4: E07C1000 800110CE
	v_add_u32_e32 v206, s62, v206                              // 0000000058BC: 699D9C3E
	v_accvgpr_read_b32 v8, a4                                  // 0000000058C0: D3D84008 18000104
	v_accvgpr_read_b32 v9, a5                                  // 0000000058C8: D3D84009 18000105
	v_accvgpr_read_b32 v10, a6                                 // 0000000058D0: D3D8400A 18000106
	v_accvgpr_read_b32 v11, a7                                 // 0000000058D8: D3D8400B 18000107
	v_accvgpr_read_b32 v12, a12                                // 0000000058E0: D3D8400C 1800010C
	v_accvgpr_read_b32 v13, a13                                // 0000000058E8: D3D8400D 1800010D
	v_accvgpr_read_b32 v14, a14                                // 0000000058F0: D3D8400E 1800010E
	v_accvgpr_read_b32 v15, a15                                // 0000000058F8: D3D8400F 1800010F
	v_cvt_pk_bf16_f32 v16, v8, v9                              // 000000005900: D2680010 00021308
	v_cvt_pk_bf16_f32 v17, v10, v11                            // 000000005908: D2680011 0002170A
	v_cvt_pk_bf16_f32 v18, v12, v13                            // 000000005910: D2680012 00021B0C
	v_cvt_pk_bf16_f32 v19, v14, v15                            // 000000005918: D2680013 00021F0E
	s_nop 1                                                    // 000000005920: BF800001
	v_permlane16_swap_b32_e32 v16, v18                         // 000000005924: 7E20B312
	s_nop 1                                                    // 000000005928: BF800001
	v_permlane16_swap_b32_e32 v17, v19                         // 00000000592C: 7E22B313
	s_nop 1                                                    // 000000005930: BF800001
	buffer_store_dwordx4 v[16:19], v206, s[4:7], 0 offen       // 000000005934: E07C1000 800110CE
	v_add_u32_e32 v206, s62, v206                              // 00000000593C: 699D9C3E
	v_accvgpr_read_b32 v8, a96                                 // 000000005940: D3D84008 18000160
	v_accvgpr_read_b32 v9, a97                                 // 000000005948: D3D84009 18000161
	v_accvgpr_read_b32 v10, a98                                // 000000005950: D3D8400A 18000162
	v_accvgpr_read_b32 v11, a99                                // 000000005958: D3D8400B 18000163
	v_accvgpr_read_b32 v12, a104                               // 000000005960: D3D8400C 18000168
	v_accvgpr_read_b32 v13, a105                               // 000000005968: D3D8400D 18000169
	v_accvgpr_read_b32 v14, a106                               // 000000005970: D3D8400E 1800016A
	v_accvgpr_read_b32 v15, a107                               // 000000005978: D3D8400F 1800016B
	v_cvt_pk_bf16_f32 v16, v8, v9                              // 000000005980: D2680010 00021308
	v_cvt_pk_bf16_f32 v17, v10, v11                            // 000000005988: D2680011 0002170A
	v_cvt_pk_bf16_f32 v18, v12, v13                            // 000000005990: D2680012 00021B0C
	v_cvt_pk_bf16_f32 v19, v14, v15                            // 000000005998: D2680013 00021F0E
	s_nop 1                                                    // 0000000059A0: BF800001
	v_permlane16_swap_b32_e32 v16, v18                         // 0000000059A4: 7E20B312
	s_nop 1                                                    // 0000000059A8: BF800001
	v_permlane16_swap_b32_e32 v17, v19                         // 0000000059AC: 7E22B313
	s_nop 1                                                    // 0000000059B0: BF800001
	buffer_store_dwordx4 v[16:19], v206, s[4:7], 0 offen       // 0000000059B4: E07C1000 800110CE
	v_add_u32_e32 v206, s62, v206                              // 0000000059BC: 699D9C3E
	v_accvgpr_read_b32 v8, a100                                // 0000000059C0: D3D84008 18000164
	v_accvgpr_read_b32 v9, a101                                // 0000000059C8: D3D84009 18000165
	v_accvgpr_read_b32 v10, a102                               // 0000000059D0: D3D8400A 18000166
	v_accvgpr_read_b32 v11, a103                               // 0000000059D8: D3D8400B 18000167
	v_accvgpr_read_b32 v12, a108                               // 0000000059E0: D3D8400C 1800016C
	v_accvgpr_read_b32 v13, a109                               // 0000000059E8: D3D8400D 1800016D
	v_accvgpr_read_b32 v14, a110                               // 0000000059F0: D3D8400E 1800016E
	v_accvgpr_read_b32 v15, a111                               // 0000000059F8: D3D8400F 1800016F
	v_cvt_pk_bf16_f32 v16, v8, v9                              // 000000005A00: D2680010 00021308
	v_cvt_pk_bf16_f32 v17, v10, v11                            // 000000005A08: D2680011 0002170A
	v_cvt_pk_bf16_f32 v18, v12, v13                            // 000000005A10: D2680012 00021B0C
	v_cvt_pk_bf16_f32 v19, v14, v15                            // 000000005A18: D2680013 00021F0E
	s_nop 1                                                    // 000000005A20: BF800001
	v_permlane16_swap_b32_e32 v16, v18                         // 000000005A24: 7E20B312
	s_nop 1                                                    // 000000005A28: BF800001
	v_permlane16_swap_b32_e32 v17, v19                         // 000000005A2C: 7E22B313
	s_nop 1                                                    // 000000005A30: BF800001
	buffer_store_dwordx4 v[16:19], v206, s[4:7], 0 offen       // 000000005A34: E07C1000 800110CE
	v_add_u32_e32 v206, s62, v206                              // 000000005A3C: 699D9C3E
	v_add_u32_e32 v206, 64, v202                               // 000000005A40: 699D94C0
	v_accvgpr_read_b32 v8, a16                                 // 000000005A44: D3D84008 18000110
	v_accvgpr_read_b32 v9, a17                                 // 000000005A4C: D3D84009 18000111
	v_accvgpr_read_b32 v10, a18                                // 000000005A54: D3D8400A 18000112
	v_accvgpr_read_b32 v11, a19                                // 000000005A5C: D3D8400B 18000113
	v_accvgpr_read_b32 v12, a24                                // 000000005A64: D3D8400C 18000118
	v_accvgpr_read_b32 v13, a25                                // 000000005A6C: D3D8400D 18000119
	v_accvgpr_read_b32 v14, a26                                // 000000005A74: D3D8400E 1800011A
	v_accvgpr_read_b32 v15, a27                                // 000000005A7C: D3D8400F 1800011B
	v_cvt_pk_bf16_f32 v16, v8, v9                              // 000000005A84: D2680010 00021308
	v_cvt_pk_bf16_f32 v17, v10, v11                            // 000000005A8C: D2680011 0002170A
	v_cvt_pk_bf16_f32 v18, v12, v13                            // 000000005A94: D2680012 00021B0C
	v_cvt_pk_bf16_f32 v19, v14, v15                            // 000000005A9C: D2680013 00021F0E
	s_nop 1                                                    // 000000005AA4: BF800001
	v_permlane16_swap_b32_e32 v16, v18                         // 000000005AA8: 7E20B312
	s_nop 1                                                    // 000000005AAC: BF800001
	v_permlane16_swap_b32_e32 v17, v19                         // 000000005AB0: 7E22B313
	s_nop 1                                                    // 000000005AB4: BF800001
	buffer_store_dwordx4 v[16:19], v206, s[4:7], 0 offen       // 000000005AB8: E07C1000 800110CE
	v_add_u32_e32 v206, s62, v206                              // 000000005AC0: 699D9C3E
	v_accvgpr_read_b32 v8, a20                                 // 000000005AC4: D3D84008 18000114
	v_accvgpr_read_b32 v9, a21                                 // 000000005ACC: D3D84009 18000115
	v_accvgpr_read_b32 v10, a22                                // 000000005AD4: D3D8400A 18000116
	v_accvgpr_read_b32 v11, a23                                // 000000005ADC: D3D8400B 18000117
	v_accvgpr_read_b32 v12, a28                                // 000000005AE4: D3D8400C 1800011C
	v_accvgpr_read_b32 v13, a29                                // 000000005AEC: D3D8400D 1800011D
	v_accvgpr_read_b32 v14, a30                                // 000000005AF4: D3D8400E 1800011E
	v_accvgpr_read_b32 v15, a31                                // 000000005AFC: D3D8400F 1800011F
	v_cvt_pk_bf16_f32 v16, v8, v9                              // 000000005B04: D2680010 00021308
	v_cvt_pk_bf16_f32 v17, v10, v11                            // 000000005B0C: D2680011 0002170A
	v_cvt_pk_bf16_f32 v18, v12, v13                            // 000000005B14: D2680012 00021B0C
	v_cvt_pk_bf16_f32 v19, v14, v15                            // 000000005B1C: D2680013 00021F0E
	s_nop 1                                                    // 000000005B24: BF800001
	v_permlane16_swap_b32_e32 v16, v18                         // 000000005B28: 7E20B312
	s_nop 1                                                    // 000000005B2C: BF800001
	v_permlane16_swap_b32_e32 v17, v19                         // 000000005B30: 7E22B313
	s_nop 1                                                    // 000000005B34: BF800001
	buffer_store_dwordx4 v[16:19], v206, s[4:7], 0 offen       // 000000005B38: E07C1000 800110CE
	v_add_u32_e32 v206, s62, v206                              // 000000005B40: 699D9C3E
	v_accvgpr_read_b32 v8, a112                                // 000000005B44: D3D84008 18000170
	v_accvgpr_read_b32 v9, a113                                // 000000005B4C: D3D84009 18000171
	v_accvgpr_read_b32 v10, a114                               // 000000005B54: D3D8400A 18000172
	v_accvgpr_read_b32 v11, a115                               // 000000005B5C: D3D8400B 18000173
	v_accvgpr_read_b32 v12, a120                               // 000000005B64: D3D8400C 18000178
	v_accvgpr_read_b32 v13, a121                               // 000000005B6C: D3D8400D 18000179
	v_accvgpr_read_b32 v14, a122                               // 000000005B74: D3D8400E 1800017A
	v_accvgpr_read_b32 v15, a123                               // 000000005B7C: D3D8400F 1800017B
	v_cvt_pk_bf16_f32 v16, v8, v9                              // 000000005B84: D2680010 00021308
	v_cvt_pk_bf16_f32 v17, v10, v11                            // 000000005B8C: D2680011 0002170A
	v_cvt_pk_bf16_f32 v18, v12, v13                            // 000000005B94: D2680012 00021B0C
	v_cvt_pk_bf16_f32 v19, v14, v15                            // 000000005B9C: D2680013 00021F0E
	s_nop 1                                                    // 000000005BA4: BF800001
	v_permlane16_swap_b32_e32 v16, v18                         // 000000005BA8: 7E20B312
	s_nop 1                                                    // 000000005BAC: BF800001
	v_permlane16_swap_b32_e32 v17, v19                         // 000000005BB0: 7E22B313
	s_nop 1                                                    // 000000005BB4: BF800001
	buffer_store_dwordx4 v[16:19], v206, s[4:7], 0 offen       // 000000005BB8: E07C1000 800110CE
	v_add_u32_e32 v206, s62, v206                              // 000000005BC0: 699D9C3E
	v_accvgpr_read_b32 v8, a116                                // 000000005BC4: D3D84008 18000174
	v_accvgpr_read_b32 v9, a117                                // 000000005BCC: D3D84009 18000175
	v_accvgpr_read_b32 v10, a118                               // 000000005BD4: D3D8400A 18000176
	v_accvgpr_read_b32 v11, a119                               // 000000005BDC: D3D8400B 18000177
	v_accvgpr_read_b32 v12, a124                               // 000000005BE4: D3D8400C 1800017C
	v_accvgpr_read_b32 v13, a125                               // 000000005BEC: D3D8400D 1800017D
	v_accvgpr_read_b32 v14, a126                               // 000000005BF4: D3D8400E 1800017E
	v_accvgpr_read_b32 v15, a127                               // 000000005BFC: D3D8400F 1800017F
	v_cvt_pk_bf16_f32 v16, v8, v9                              // 000000005C04: D2680010 00021308
	v_cvt_pk_bf16_f32 v17, v10, v11                            // 000000005C0C: D2680011 0002170A
	v_cvt_pk_bf16_f32 v18, v12, v13                            // 000000005C14: D2680012 00021B0C
	v_cvt_pk_bf16_f32 v19, v14, v15                            // 000000005C1C: D2680013 00021F0E
	s_nop 1                                                    // 000000005C24: BF800001
	v_permlane16_swap_b32_e32 v16, v18                         // 000000005C28: 7E20B312
	s_nop 1                                                    // 000000005C2C: BF800001
	v_permlane16_swap_b32_e32 v17, v19                         // 000000005C30: 7E22B313
	s_nop 1                                                    // 000000005C34: BF800001
	buffer_store_dwordx4 v[16:19], v206, s[4:7], 0 offen       // 000000005C38: E07C1000 800110CE
	v_add_u32_e32 v206, s62, v206                              // 000000005C40: 699D9C3E
	v_add_u32_e32 v206, 0x80, v202                             // 000000005C44: 699D94FF 00000080
	v_accvgpr_read_b32 v8, a32                                 // 000000005C4C: D3D84008 18000120
	v_accvgpr_read_b32 v9, a33                                 // 000000005C54: D3D84009 18000121
	v_accvgpr_read_b32 v10, a34                                // 000000005C5C: D3D8400A 18000122
	v_accvgpr_read_b32 v11, a35                                // 000000005C64: D3D8400B 18000123
	v_accvgpr_read_b32 v12, a40                                // 000000005C6C: D3D8400C 18000128
	v_accvgpr_read_b32 v13, a41                                // 000000005C74: D3D8400D 18000129
	v_accvgpr_read_b32 v14, a42                                // 000000005C7C: D3D8400E 1800012A
	v_accvgpr_read_b32 v15, a43                                // 000000005C84: D3D8400F 1800012B
	v_cvt_pk_bf16_f32 v16, v8, v9                              // 000000005C8C: D2680010 00021308
	v_cvt_pk_bf16_f32 v17, v10, v11                            // 000000005C94: D2680011 0002170A
	v_cvt_pk_bf16_f32 v18, v12, v13                            // 000000005C9C: D2680012 00021B0C
	v_cvt_pk_bf16_f32 v19, v14, v15                            // 000000005CA4: D2680013 00021F0E
	s_nop 1                                                    // 000000005CAC: BF800001
	v_permlane16_swap_b32_e32 v16, v18                         // 000000005CB0: 7E20B312
	s_nop 1                                                    // 000000005CB4: BF800001
	v_permlane16_swap_b32_e32 v17, v19                         // 000000005CB8: 7E22B313
	s_nop 1                                                    // 000000005CBC: BF800001
	buffer_store_dwordx4 v[16:19], v206, s[4:7], 0 offen       // 000000005CC0: E07C1000 800110CE
	v_add_u32_e32 v206, s62, v206                              // 000000005CC8: 699D9C3E
	v_accvgpr_read_b32 v8, a36                                 // 000000005CCC: D3D84008 18000124
	v_accvgpr_read_b32 v9, a37                                 // 000000005CD4: D3D84009 18000125
	v_accvgpr_read_b32 v10, a38                                // 000000005CDC: D3D8400A 18000126
	v_accvgpr_read_b32 v11, a39                                // 000000005CE4: D3D8400B 18000127
	v_accvgpr_read_b32 v12, a44                                // 000000005CEC: D3D8400C 1800012C
	v_accvgpr_read_b32 v13, a45                                // 000000005CF4: D3D8400D 1800012D
	v_accvgpr_read_b32 v14, a46                                // 000000005CFC: D3D8400E 1800012E
	v_accvgpr_read_b32 v15, a47                                // 000000005D04: D3D8400F 1800012F
	v_cvt_pk_bf16_f32 v16, v8, v9                              // 000000005D0C: D2680010 00021308
	v_cvt_pk_bf16_f32 v17, v10, v11                            // 000000005D14: D2680011 0002170A
	v_cvt_pk_bf16_f32 v18, v12, v13                            // 000000005D1C: D2680012 00021B0C
	v_cvt_pk_bf16_f32 v19, v14, v15                            // 000000005D24: D2680013 00021F0E
	s_nop 1                                                    // 000000005D2C: BF800001
	v_permlane16_swap_b32_e32 v16, v18                         // 000000005D30: 7E20B312
	s_nop 1                                                    // 000000005D34: BF800001
	v_permlane16_swap_b32_e32 v17, v19                         // 000000005D38: 7E22B313
	s_nop 1                                                    // 000000005D3C: BF800001
	buffer_store_dwordx4 v[16:19], v206, s[4:7], 0 offen       // 000000005D40: E07C1000 800110CE
	v_add_u32_e32 v206, s62, v206                              // 000000005D48: 699D9C3E
	v_accvgpr_read_b32 v8, a128                                // 000000005D4C: D3D84008 18000180
	v_accvgpr_read_b32 v9, a129                                // 000000005D54: D3D84009 18000181
	v_accvgpr_read_b32 v10, a130                               // 000000005D5C: D3D8400A 18000182
	v_accvgpr_read_b32 v11, a131                               // 000000005D64: D3D8400B 18000183
	v_accvgpr_read_b32 v12, a136                               // 000000005D6C: D3D8400C 18000188
	v_accvgpr_read_b32 v13, a137                               // 000000005D74: D3D8400D 18000189
	v_accvgpr_read_b32 v14, a138                               // 000000005D7C: D3D8400E 1800018A
	v_accvgpr_read_b32 v15, a139                               // 000000005D84: D3D8400F 1800018B
	v_cvt_pk_bf16_f32 v16, v8, v9                              // 000000005D8C: D2680010 00021308
	v_cvt_pk_bf16_f32 v17, v10, v11                            // 000000005D94: D2680011 0002170A
	v_cvt_pk_bf16_f32 v18, v12, v13                            // 000000005D9C: D2680012 00021B0C
	v_cvt_pk_bf16_f32 v19, v14, v15                            // 000000005DA4: D2680013 00021F0E
	s_nop 1                                                    // 000000005DAC: BF800001
	v_permlane16_swap_b32_e32 v16, v18                         // 000000005DB0: 7E20B312
	s_nop 1                                                    // 000000005DB4: BF800001
	v_permlane16_swap_b32_e32 v17, v19                         // 000000005DB8: 7E22B313
	s_nop 1                                                    // 000000005DBC: BF800001
	buffer_store_dwordx4 v[16:19], v206, s[4:7], 0 offen       // 000000005DC0: E07C1000 800110CE
	v_add_u32_e32 v206, s62, v206                              // 000000005DC8: 699D9C3E
	v_accvgpr_read_b32 v8, a132                                // 000000005DCC: D3D84008 18000184
	v_accvgpr_read_b32 v9, a133                                // 000000005DD4: D3D84009 18000185
	v_accvgpr_read_b32 v10, a134                               // 000000005DDC: D3D8400A 18000186
	v_accvgpr_read_b32 v11, a135                               // 000000005DE4: D3D8400B 18000187
	v_accvgpr_read_b32 v12, a140                               // 000000005DEC: D3D8400C 1800018C
	v_accvgpr_read_b32 v13, a141                               // 000000005DF4: D3D8400D 1800018D
	v_accvgpr_read_b32 v14, a142                               // 000000005DFC: D3D8400E 1800018E
	v_accvgpr_read_b32 v15, a143                               // 000000005E04: D3D8400F 1800018F
	v_cvt_pk_bf16_f32 v16, v8, v9                              // 000000005E0C: D2680010 00021308
	v_cvt_pk_bf16_f32 v17, v10, v11                            // 000000005E14: D2680011 0002170A
	v_cvt_pk_bf16_f32 v18, v12, v13                            // 000000005E1C: D2680012 00021B0C
	v_cvt_pk_bf16_f32 v19, v14, v15                            // 000000005E24: D2680013 00021F0E
	s_nop 1                                                    // 000000005E2C: BF800001
	v_permlane16_swap_b32_e32 v16, v18                         // 000000005E30: 7E20B312
	s_nop 1                                                    // 000000005E34: BF800001
	v_permlane16_swap_b32_e32 v17, v19                         // 000000005E38: 7E22B313
	s_nop 1                                                    // 000000005E3C: BF800001
	buffer_store_dwordx4 v[16:19], v206, s[4:7], 0 offen       // 000000005E40: E07C1000 800110CE
	v_add_u32_e32 v206, s62, v206                              // 000000005E48: 699D9C3E
	v_add_u32_e32 v206, 0xc0, v202                             // 000000005E4C: 699D94FF 000000C0
	v_accvgpr_read_b32 v8, a48                                 // 000000005E54: D3D84008 18000130
	v_accvgpr_read_b32 v9, a49                                 // 000000005E5C: D3D84009 18000131
	v_accvgpr_read_b32 v10, a50                                // 000000005E64: D3D8400A 18000132
	v_accvgpr_read_b32 v11, a51                                // 000000005E6C: D3D8400B 18000133
	v_accvgpr_read_b32 v12, a56                                // 000000005E74: D3D8400C 18000138
	v_accvgpr_read_b32 v13, a57                                // 000000005E7C: D3D8400D 18000139
	v_accvgpr_read_b32 v14, a58                                // 000000005E84: D3D8400E 1800013A
	v_accvgpr_read_b32 v15, a59                                // 000000005E8C: D3D8400F 1800013B
	v_cvt_pk_bf16_f32 v16, v8, v9                              // 000000005E94: D2680010 00021308
	v_cvt_pk_bf16_f32 v17, v10, v11                            // 000000005E9C: D2680011 0002170A
	v_cvt_pk_bf16_f32 v18, v12, v13                            // 000000005EA4: D2680012 00021B0C
	v_cvt_pk_bf16_f32 v19, v14, v15                            // 000000005EAC: D2680013 00021F0E
	s_nop 1                                                    // 000000005EB4: BF800001
	v_permlane16_swap_b32_e32 v16, v18                         // 000000005EB8: 7E20B312
	s_nop 1                                                    // 000000005EBC: BF800001
	v_permlane16_swap_b32_e32 v17, v19                         // 000000005EC0: 7E22B313
	s_nop 1                                                    // 000000005EC4: BF800001
	buffer_store_dwordx4 v[16:19], v206, s[4:7], 0 offen       // 000000005EC8: E07C1000 800110CE
	v_add_u32_e32 v206, s62, v206                              // 000000005ED0: 699D9C3E
	v_accvgpr_read_b32 v8, a52                                 // 000000005ED4: D3D84008 18000134
	v_accvgpr_read_b32 v9, a53                                 // 000000005EDC: D3D84009 18000135
	v_accvgpr_read_b32 v10, a54                                // 000000005EE4: D3D8400A 18000136
	v_accvgpr_read_b32 v11, a55                                // 000000005EEC: D3D8400B 18000137
	v_accvgpr_read_b32 v12, a60                                // 000000005EF4: D3D8400C 1800013C
	v_accvgpr_read_b32 v13, a61                                // 000000005EFC: D3D8400D 1800013D
	v_accvgpr_read_b32 v14, a62                                // 000000005F04: D3D8400E 1800013E
	v_accvgpr_read_b32 v15, a63                                // 000000005F0C: D3D8400F 1800013F
	v_cvt_pk_bf16_f32 v16, v8, v9                              // 000000005F14: D2680010 00021308
	v_cvt_pk_bf16_f32 v17, v10, v11                            // 000000005F1C: D2680011 0002170A
	v_cvt_pk_bf16_f32 v18, v12, v13                            // 000000005F24: D2680012 00021B0C
	v_cvt_pk_bf16_f32 v19, v14, v15                            // 000000005F2C: D2680013 00021F0E
	s_nop 1                                                    // 000000005F34: BF800001
	v_permlane16_swap_b32_e32 v16, v18                         // 000000005F38: 7E20B312
	s_nop 1                                                    // 000000005F3C: BF800001
	v_permlane16_swap_b32_e32 v17, v19                         // 000000005F40: 7E22B313
	s_nop 1                                                    // 000000005F44: BF800001
	buffer_store_dwordx4 v[16:19], v206, s[4:7], 0 offen       // 000000005F48: E07C1000 800110CE
	v_add_u32_e32 v206, s62, v206                              // 000000005F50: 699D9C3E
	v_accvgpr_read_b32 v8, a144                                // 000000005F54: D3D84008 18000190
	v_accvgpr_read_b32 v9, a145                                // 000000005F5C: D3D84009 18000191
	v_accvgpr_read_b32 v10, a146                               // 000000005F64: D3D8400A 18000192
	v_accvgpr_read_b32 v11, a147                               // 000000005F6C: D3D8400B 18000193
	v_accvgpr_read_b32 v12, a152                               // 000000005F74: D3D8400C 18000198
	v_accvgpr_read_b32 v13, a153                               // 000000005F7C: D3D8400D 18000199
	v_accvgpr_read_b32 v14, a154                               // 000000005F84: D3D8400E 1800019A
	v_accvgpr_read_b32 v15, a155                               // 000000005F8C: D3D8400F 1800019B
	v_cvt_pk_bf16_f32 v16, v8, v9                              // 000000005F94: D2680010 00021308
	v_cvt_pk_bf16_f32 v17, v10, v11                            // 000000005F9C: D2680011 0002170A
	v_cvt_pk_bf16_f32 v18, v12, v13                            // 000000005FA4: D2680012 00021B0C
	v_cvt_pk_bf16_f32 v19, v14, v15                            // 000000005FAC: D2680013 00021F0E
	s_nop 1                                                    // 000000005FB4: BF800001
	v_permlane16_swap_b32_e32 v16, v18                         // 000000005FB8: 7E20B312
	s_nop 1                                                    // 000000005FBC: BF800001
	v_permlane16_swap_b32_e32 v17, v19                         // 000000005FC0: 7E22B313
	s_nop 1                                                    // 000000005FC4: BF800001
	buffer_store_dwordx4 v[16:19], v206, s[4:7], 0 offen       // 000000005FC8: E07C1000 800110CE
	v_add_u32_e32 v206, s62, v206                              // 000000005FD0: 699D9C3E
	v_accvgpr_read_b32 v8, a148                                // 000000005FD4: D3D84008 18000194
	v_accvgpr_read_b32 v9, a149                                // 000000005FDC: D3D84009 18000195
	v_accvgpr_read_b32 v10, a150                               // 000000005FE4: D3D8400A 18000196
	v_accvgpr_read_b32 v11, a151                               // 000000005FEC: D3D8400B 18000197
	v_accvgpr_read_b32 v12, a156                               // 000000005FF4: D3D8400C 1800019C
	v_accvgpr_read_b32 v13, a157                               // 000000005FFC: D3D8400D 1800019D
	v_accvgpr_read_b32 v14, a158                               // 000000006004: D3D8400E 1800019E
	v_accvgpr_read_b32 v15, a159                               // 00000000600C: D3D8400F 1800019F
	v_cvt_pk_bf16_f32 v16, v8, v9                              // 000000006014: D2680010 00021308
	v_cvt_pk_bf16_f32 v17, v10, v11                            // 00000000601C: D2680011 0002170A
	v_cvt_pk_bf16_f32 v18, v12, v13                            // 000000006024: D2680012 00021B0C
	v_cvt_pk_bf16_f32 v19, v14, v15                            // 00000000602C: D2680013 00021F0E
	s_nop 1                                                    // 000000006034: BF800001
	v_permlane16_swap_b32_e32 v16, v18                         // 000000006038: 7E20B312
	s_nop 1                                                    // 00000000603C: BF800001
	v_permlane16_swap_b32_e32 v17, v19                         // 000000006040: 7E22B313
	s_nop 1                                                    // 000000006044: BF800001
	buffer_store_dwordx4 v[16:19], v206, s[4:7], 0 offen       // 000000006048: E07C1000 800110CE
	v_add_u32_e32 v206, s62, v206                              // 000000006050: 699D9C3E
	v_add_u32_e32 v206, 0x100, v202                            // 000000006054: 699D94FF 00000100
	v_accvgpr_read_b32 v8, a64                                 // 00000000605C: D3D84008 18000140
	v_accvgpr_read_b32 v9, a65                                 // 000000006064: D3D84009 18000141
	v_accvgpr_read_b32 v10, a66                                // 00000000606C: D3D8400A 18000142
	v_accvgpr_read_b32 v11, a67                                // 000000006074: D3D8400B 18000143
	v_accvgpr_read_b32 v12, a72                                // 00000000607C: D3D8400C 18000148
	v_accvgpr_read_b32 v13, a73                                // 000000006084: D3D8400D 18000149
	v_accvgpr_read_b32 v14, a74                                // 00000000608C: D3D8400E 1800014A
	v_accvgpr_read_b32 v15, a75                                // 000000006094: D3D8400F 1800014B
	v_cvt_pk_bf16_f32 v16, v8, v9                              // 00000000609C: D2680010 00021308
	v_cvt_pk_bf16_f32 v17, v10, v11                            // 0000000060A4: D2680011 0002170A
	v_cvt_pk_bf16_f32 v18, v12, v13                            // 0000000060AC: D2680012 00021B0C
	v_cvt_pk_bf16_f32 v19, v14, v15                            // 0000000060B4: D2680013 00021F0E
	s_nop 1                                                    // 0000000060BC: BF800001
	v_permlane16_swap_b32_e32 v16, v18                         // 0000000060C0: 7E20B312
	s_nop 1                                                    // 0000000060C4: BF800001
	v_permlane16_swap_b32_e32 v17, v19                         // 0000000060C8: 7E22B313
	s_nop 1                                                    // 0000000060CC: BF800001
	buffer_store_dwordx4 v[16:19], v206, s[4:7], 0 offen       // 0000000060D0: E07C1000 800110CE
	v_add_u32_e32 v206, s62, v206                              // 0000000060D8: 699D9C3E
	v_accvgpr_read_b32 v8, a68                                 // 0000000060DC: D3D84008 18000144
	v_accvgpr_read_b32 v9, a69                                 // 0000000060E4: D3D84009 18000145
	v_accvgpr_read_b32 v10, a70                                // 0000000060EC: D3D8400A 18000146
	v_accvgpr_read_b32 v11, a71                                // 0000000060F4: D3D8400B 18000147
	v_accvgpr_read_b32 v12, a76                                // 0000000060FC: D3D8400C 1800014C
	v_accvgpr_read_b32 v13, a77                                // 000000006104: D3D8400D 1800014D
	v_accvgpr_read_b32 v14, a78                                // 00000000610C: D3D8400E 1800014E
	v_accvgpr_read_b32 v15, a79                                // 000000006114: D3D8400F 1800014F
	v_cvt_pk_bf16_f32 v16, v8, v9                              // 00000000611C: D2680010 00021308
	v_cvt_pk_bf16_f32 v17, v10, v11                            // 000000006124: D2680011 0002170A
	v_cvt_pk_bf16_f32 v18, v12, v13                            // 00000000612C: D2680012 00021B0C
	v_cvt_pk_bf16_f32 v19, v14, v15                            // 000000006134: D2680013 00021F0E
	s_nop 1                                                    // 00000000613C: BF800001
	v_permlane16_swap_b32_e32 v16, v18                         // 000000006140: 7E20B312
	s_nop 1                                                    // 000000006144: BF800001
	v_permlane16_swap_b32_e32 v17, v19                         // 000000006148: 7E22B313
	s_nop 1                                                    // 00000000614C: BF800001
	buffer_store_dwordx4 v[16:19], v206, s[4:7], 0 offen       // 000000006150: E07C1000 800110CE
	v_add_u32_e32 v206, s62, v206                              // 000000006158: 699D9C3E
	v_accvgpr_read_b32 v8, a160                                // 00000000615C: D3D84008 180001A0
	v_accvgpr_read_b32 v9, a161                                // 000000006164: D3D84009 180001A1
	v_accvgpr_read_b32 v10, a162                               // 00000000616C: D3D8400A 180001A2
	v_accvgpr_read_b32 v11, a163                               // 000000006174: D3D8400B 180001A3
	v_accvgpr_read_b32 v12, a168                               // 00000000617C: D3D8400C 180001A8
	v_accvgpr_read_b32 v13, a169                               // 000000006184: D3D8400D 180001A9
	v_accvgpr_read_b32 v14, a170                               // 00000000618C: D3D8400E 180001AA
	v_accvgpr_read_b32 v15, a171                               // 000000006194: D3D8400F 180001AB
	v_cvt_pk_bf16_f32 v16, v8, v9                              // 00000000619C: D2680010 00021308
	v_cvt_pk_bf16_f32 v17, v10, v11                            // 0000000061A4: D2680011 0002170A
	v_cvt_pk_bf16_f32 v18, v12, v13                            // 0000000061AC: D2680012 00021B0C
	v_cvt_pk_bf16_f32 v19, v14, v15                            // 0000000061B4: D2680013 00021F0E
	s_nop 1                                                    // 0000000061BC: BF800001
	v_permlane16_swap_b32_e32 v16, v18                         // 0000000061C0: 7E20B312
	s_nop 1                                                    // 0000000061C4: BF800001
	v_permlane16_swap_b32_e32 v17, v19                         // 0000000061C8: 7E22B313
	s_nop 1                                                    // 0000000061CC: BF800001
	buffer_store_dwordx4 v[16:19], v206, s[4:7], 0 offen       // 0000000061D0: E07C1000 800110CE
	v_add_u32_e32 v206, s62, v206                              // 0000000061D8: 699D9C3E
	v_accvgpr_read_b32 v8, a164                                // 0000000061DC: D3D84008 180001A4
	v_accvgpr_read_b32 v9, a165                                // 0000000061E4: D3D84009 180001A5
	v_accvgpr_read_b32 v10, a166                               // 0000000061EC: D3D8400A 180001A6
	v_accvgpr_read_b32 v11, a167                               // 0000000061F4: D3D8400B 180001A7
	v_accvgpr_read_b32 v12, a172                               // 0000000061FC: D3D8400C 180001AC
	v_accvgpr_read_b32 v13, a173                               // 000000006204: D3D8400D 180001AD
	v_accvgpr_read_b32 v14, a174                               // 00000000620C: D3D8400E 180001AE
	v_accvgpr_read_b32 v15, a175                               // 000000006214: D3D8400F 180001AF
	v_cvt_pk_bf16_f32 v16, v8, v9                              // 00000000621C: D2680010 00021308
	v_cvt_pk_bf16_f32 v17, v10, v11                            // 000000006224: D2680011 0002170A
	v_cvt_pk_bf16_f32 v18, v12, v13                            // 00000000622C: D2680012 00021B0C
	v_cvt_pk_bf16_f32 v19, v14, v15                            // 000000006234: D2680013 00021F0E
	s_nop 1                                                    // 00000000623C: BF800001
	v_permlane16_swap_b32_e32 v16, v18                         // 000000006240: 7E20B312
	s_nop 1                                                    // 000000006244: BF800001
	v_permlane16_swap_b32_e32 v17, v19                         // 000000006248: 7E22B313
	s_nop 1                                                    // 00000000624C: BF800001
	buffer_store_dwordx4 v[16:19], v206, s[4:7], 0 offen       // 000000006250: E07C1000 800110CE
	v_add_u32_e32 v206, s62, v206                              // 000000006258: 699D9C3E
	v_add_u32_e32 v206, 0x140, v202                            // 00000000625C: 699D94FF 00000140
	v_accvgpr_read_b32 v8, a80                                 // 000000006264: D3D84008 18000150
	v_accvgpr_read_b32 v9, a81                                 // 00000000626C: D3D84009 18000151
	v_accvgpr_read_b32 v10, a82                                // 000000006274: D3D8400A 18000152
	v_accvgpr_read_b32 v11, a83                                // 00000000627C: D3D8400B 18000153
	v_accvgpr_read_b32 v12, a88                                // 000000006284: D3D8400C 18000158
	v_accvgpr_read_b32 v13, a89                                // 00000000628C: D3D8400D 18000159
	v_accvgpr_read_b32 v14, a90                                // 000000006294: D3D8400E 1800015A
	v_accvgpr_read_b32 v15, a91                                // 00000000629C: D3D8400F 1800015B
	v_cvt_pk_bf16_f32 v16, v8, v9                              // 0000000062A4: D2680010 00021308
	v_cvt_pk_bf16_f32 v17, v10, v11                            // 0000000062AC: D2680011 0002170A
	v_cvt_pk_bf16_f32 v18, v12, v13                            // 0000000062B4: D2680012 00021B0C
	v_cvt_pk_bf16_f32 v19, v14, v15                            // 0000000062BC: D2680013 00021F0E
	s_nop 1                                                    // 0000000062C4: BF800001
	v_permlane16_swap_b32_e32 v16, v18                         // 0000000062C8: 7E20B312
	s_nop 1                                                    // 0000000062CC: BF800001
	v_permlane16_swap_b32_e32 v17, v19                         // 0000000062D0: 7E22B313
	s_nop 1                                                    // 0000000062D4: BF800001
	buffer_store_dwordx4 v[16:19], v206, s[4:7], 0 offen       // 0000000062D8: E07C1000 800110CE
	v_add_u32_e32 v206, s62, v206                              // 0000000062E0: 699D9C3E
	v_accvgpr_read_b32 v8, a84                                 // 0000000062E4: D3D84008 18000154
	v_accvgpr_read_b32 v9, a85                                 // 0000000062EC: D3D84009 18000155
	v_accvgpr_read_b32 v10, a86                                // 0000000062F4: D3D8400A 18000156
	v_accvgpr_read_b32 v11, a87                                // 0000000062FC: D3D8400B 18000157
	v_accvgpr_read_b32 v12, a92                                // 000000006304: D3D8400C 1800015C
	v_accvgpr_read_b32 v13, a93                                // 00000000630C: D3D8400D 1800015D
	v_accvgpr_read_b32 v14, a94                                // 000000006314: D3D8400E 1800015E
	v_accvgpr_read_b32 v15, a95                                // 00000000631C: D3D8400F 1800015F
	v_cvt_pk_bf16_f32 v16, v8, v9                              // 000000006324: D2680010 00021308
	v_cvt_pk_bf16_f32 v17, v10, v11                            // 00000000632C: D2680011 0002170A
	v_cvt_pk_bf16_f32 v18, v12, v13                            // 000000006334: D2680012 00021B0C
	v_cvt_pk_bf16_f32 v19, v14, v15                            // 00000000633C: D2680013 00021F0E
	s_nop 1                                                    // 000000006344: BF800001
	v_permlane16_swap_b32_e32 v16, v18                         // 000000006348: 7E20B312
	s_nop 1                                                    // 00000000634C: BF800001
	v_permlane16_swap_b32_e32 v17, v19                         // 000000006350: 7E22B313
	s_nop 1                                                    // 000000006354: BF800001
	buffer_store_dwordx4 v[16:19], v206, s[4:7], 0 offen       // 000000006358: E07C1000 800110CE
	v_add_u32_e32 v206, s62, v206                              // 000000006360: 699D9C3E
	v_accvgpr_read_b32 v8, a176                                // 000000006364: D3D84008 180001B0
	v_accvgpr_read_b32 v9, a177                                // 00000000636C: D3D84009 180001B1
	v_accvgpr_read_b32 v10, a178                               // 000000006374: D3D8400A 180001B2
	v_accvgpr_read_b32 v11, a179                               // 00000000637C: D3D8400B 180001B3
	v_accvgpr_read_b32 v12, a184                               // 000000006384: D3D8400C 180001B8
	v_accvgpr_read_b32 v13, a185                               // 00000000638C: D3D8400D 180001B9
	v_accvgpr_read_b32 v14, a186                               // 000000006394: D3D8400E 180001BA
	v_accvgpr_read_b32 v15, a187                               // 00000000639C: D3D8400F 180001BB
	v_cvt_pk_bf16_f32 v16, v8, v9                              // 0000000063A4: D2680010 00021308
	v_cvt_pk_bf16_f32 v17, v10, v11                            // 0000000063AC: D2680011 0002170A
	v_cvt_pk_bf16_f32 v18, v12, v13                            // 0000000063B4: D2680012 00021B0C
	v_cvt_pk_bf16_f32 v19, v14, v15                            // 0000000063BC: D2680013 00021F0E
	s_nop 1                                                    // 0000000063C4: BF800001
	v_permlane16_swap_b32_e32 v16, v18                         // 0000000063C8: 7E20B312
	s_nop 1                                                    // 0000000063CC: BF800001
	v_permlane16_swap_b32_e32 v17, v19                         // 0000000063D0: 7E22B313
	s_nop 1                                                    // 0000000063D4: BF800001
	buffer_store_dwordx4 v[16:19], v206, s[4:7], 0 offen       // 0000000063D8: E07C1000 800110CE
	v_add_u32_e32 v206, s62, v206                              // 0000000063E0: 699D9C3E
	v_accvgpr_read_b32 v8, a180                                // 0000000063E4: D3D84008 180001B4
	v_accvgpr_read_b32 v9, a181                                // 0000000063EC: D3D84009 180001B5
	v_accvgpr_read_b32 v10, a182                               // 0000000063F4: D3D8400A 180001B6
	v_accvgpr_read_b32 v11, a183                               // 0000000063FC: D3D8400B 180001B7
	v_accvgpr_read_b32 v12, a188                               // 000000006404: D3D8400C 180001BC
	v_accvgpr_read_b32 v13, a189                               // 00000000640C: D3D8400D 180001BD
	v_accvgpr_read_b32 v14, a190                               // 000000006414: D3D8400E 180001BE
	v_accvgpr_read_b32 v15, a191                               // 00000000641C: D3D8400F 180001BF
	v_cvt_pk_bf16_f32 v16, v8, v9                              // 000000006424: D2680010 00021308
	v_cvt_pk_bf16_f32 v17, v10, v11                            // 00000000642C: D2680011 0002170A
	v_cvt_pk_bf16_f32 v18, v12, v13                            // 000000006434: D2680012 00021B0C
	v_cvt_pk_bf16_f32 v19, v14, v15                            // 00000000643C: D2680013 00021F0E
	s_nop 1                                                    // 000000006444: BF800001
	v_permlane16_swap_b32_e32 v16, v18                         // 000000006448: 7E20B312
	s_nop 1                                                    // 00000000644C: BF800001
	v_permlane16_swap_b32_e32 v17, v19                         // 000000006450: 7E22B313
	s_nop 1                                                    // 000000006454: BF800001
	buffer_store_dwordx4 v[16:19], v206, s[4:7], 0 offen       // 000000006458: E07C1000 800110CE
	v_add_u32_e32 v206, s62, v206                              // 000000006460: 699D9C3E
	s_branch label_1137                                        // 000000006464: BF82031D

0000000000006468 <label_0E1A>:
	s_mul_i32 s62, s36, 16                                     // 000000006468: 923E9024
	s_cmp_lt_i32 s60, s44                                      // 00000000646C: BF042C3C
	s_cbranch_scc0 label_1137                                  // 000000006470: BF84031A
	s_addk_i32 s60, 0x20                                       // 000000006474: B73C0020
	v_add_u32_e32 v206, 0, v202                                // 000000006478: 699D9480
	v_accvgpr_read_b32 v8, a0                                  // 00000000647C: D3D84008 18000100
	v_accvgpr_read_b32 v9, a1                                  // 000000006484: D3D84009 18000101
	v_accvgpr_read_b32 v10, a2                                 // 00000000648C: D3D8400A 18000102
	v_accvgpr_read_b32 v11, a3                                 // 000000006494: D3D8400B 18000103
	v_accvgpr_read_b32 v12, a8                                 // 00000000649C: D3D8400C 18000108
	v_accvgpr_read_b32 v13, a9                                 // 0000000064A4: D3D8400D 18000109
	v_accvgpr_read_b32 v14, a10                                // 0000000064AC: D3D8400E 1800010A
	v_accvgpr_read_b32 v15, a11                                // 0000000064B4: D3D8400F 1800010B
	v_cvt_pk_bf16_f32 v16, v8, v9                              // 0000000064BC: D2680010 00021308
	v_cvt_pk_bf16_f32 v17, v10, v11                            // 0000000064C4: D2680011 0002170A
	v_cvt_pk_bf16_f32 v18, v12, v13                            // 0000000064CC: D2680012 00021B0C
	v_cvt_pk_bf16_f32 v19, v14, v15                            // 0000000064D4: D2680013 00021F0E
	s_nop 1                                                    // 0000000064DC: BF800001
	v_permlane16_swap_b32_e32 v16, v18                         // 0000000064E0: 7E20B312
	s_nop 1                                                    // 0000000064E4: BF800001
	v_permlane16_swap_b32_e32 v17, v19                         // 0000000064E8: 7E22B313
	s_nop 1                                                    // 0000000064EC: BF800001
	buffer_store_dwordx4 v[16:19], v206, s[4:7], 0 offen       // 0000000064F0: E07C1000 800110CE
	v_add_u32_e32 v206, s62, v206                              // 0000000064F8: 699D9C3E
	v_accvgpr_read_b32 v8, a4                                  // 0000000064FC: D3D84008 18000104
	v_accvgpr_read_b32 v9, a5                                  // 000000006504: D3D84009 18000105
	v_accvgpr_read_b32 v10, a6                                 // 00000000650C: D3D8400A 18000106
	v_accvgpr_read_b32 v11, a7                                 // 000000006514: D3D8400B 18000107
	v_accvgpr_read_b32 v12, a12                                // 00000000651C: D3D8400C 1800010C
	v_accvgpr_read_b32 v13, a13                                // 000000006524: D3D8400D 1800010D
	v_accvgpr_read_b32 v14, a14                                // 00000000652C: D3D8400E 1800010E
	v_accvgpr_read_b32 v15, a15                                // 000000006534: D3D8400F 1800010F
	v_cvt_pk_bf16_f32 v16, v8, v9                              // 00000000653C: D2680010 00021308
	v_cvt_pk_bf16_f32 v17, v10, v11                            // 000000006544: D2680011 0002170A
	v_cvt_pk_bf16_f32 v18, v12, v13                            // 00000000654C: D2680012 00021B0C
	v_cvt_pk_bf16_f32 v19, v14, v15                            // 000000006554: D2680013 00021F0E
	s_nop 1                                                    // 00000000655C: BF800001
	v_permlane16_swap_b32_e32 v16, v18                         // 000000006560: 7E20B312
	s_nop 1                                                    // 000000006564: BF800001
	v_permlane16_swap_b32_e32 v17, v19                         // 000000006568: 7E22B313
	s_nop 1                                                    // 00000000656C: BF800001
	buffer_store_dwordx4 v[16:19], v206, s[4:7], 0 offen       // 000000006570: E07C1000 800110CE
	v_add_u32_e32 v206, s62, v206                              // 000000006578: 699D9C3E
	v_accvgpr_read_b32 v8, a96                                 // 00000000657C: D3D84008 18000160
	v_accvgpr_read_b32 v9, a97                                 // 000000006584: D3D84009 18000161
	v_accvgpr_read_b32 v10, a98                                // 00000000658C: D3D8400A 18000162
	v_accvgpr_read_b32 v11, a99                                // 000000006594: D3D8400B 18000163
	v_accvgpr_read_b32 v12, a104                               // 00000000659C: D3D8400C 18000168
	v_accvgpr_read_b32 v13, a105                               // 0000000065A4: D3D8400D 18000169
	v_accvgpr_read_b32 v14, a106                               // 0000000065AC: D3D8400E 1800016A
	v_accvgpr_read_b32 v15, a107                               // 0000000065B4: D3D8400F 1800016B
	v_cvt_pk_bf16_f32 v16, v8, v9                              // 0000000065BC: D2680010 00021308
	v_cvt_pk_bf16_f32 v17, v10, v11                            // 0000000065C4: D2680011 0002170A
	v_cvt_pk_bf16_f32 v18, v12, v13                            // 0000000065CC: D2680012 00021B0C
	v_cvt_pk_bf16_f32 v19, v14, v15                            // 0000000065D4: D2680013 00021F0E
	s_nop 1                                                    // 0000000065DC: BF800001
	v_permlane16_swap_b32_e32 v16, v18                         // 0000000065E0: 7E20B312
	s_nop 1                                                    // 0000000065E4: BF800001
	v_permlane16_swap_b32_e32 v17, v19                         // 0000000065E8: 7E22B313
	s_nop 1                                                    // 0000000065EC: BF800001
	buffer_store_dwordx4 v[16:19], v206, s[4:7], 0 offen       // 0000000065F0: E07C1000 800110CE
	v_add_u32_e32 v206, s62, v206                              // 0000000065F8: 699D9C3E
	v_accvgpr_read_b32 v8, a100                                // 0000000065FC: D3D84008 18000164
	v_accvgpr_read_b32 v9, a101                                // 000000006604: D3D84009 18000165
	v_accvgpr_read_b32 v10, a102                               // 00000000660C: D3D8400A 18000166
	v_accvgpr_read_b32 v11, a103                               // 000000006614: D3D8400B 18000167
	v_accvgpr_read_b32 v12, a108                               // 00000000661C: D3D8400C 1800016C
	v_accvgpr_read_b32 v13, a109                               // 000000006624: D3D8400D 1800016D
	v_accvgpr_read_b32 v14, a110                               // 00000000662C: D3D8400E 1800016E
	v_accvgpr_read_b32 v15, a111                               // 000000006634: D3D8400F 1800016F
	v_cvt_pk_bf16_f32 v16, v8, v9                              // 00000000663C: D2680010 00021308
	v_cvt_pk_bf16_f32 v17, v10, v11                            // 000000006644: D2680011 0002170A
	v_cvt_pk_bf16_f32 v18, v12, v13                            // 00000000664C: D2680012 00021B0C
	v_cvt_pk_bf16_f32 v19, v14, v15                            // 000000006654: D2680013 00021F0E
	s_nop 1                                                    // 00000000665C: BF800001
	v_permlane16_swap_b32_e32 v16, v18                         // 000000006660: 7E20B312
	s_nop 1                                                    // 000000006664: BF800001
	v_permlane16_swap_b32_e32 v17, v19                         // 000000006668: 7E22B313
	s_nop 1                                                    // 00000000666C: BF800001
	buffer_store_dwordx4 v[16:19], v206, s[4:7], 0 offen       // 000000006670: E07C1000 800110CE
	v_add_u32_e32 v206, s62, v206                              // 000000006678: 699D9C3E
	s_cmp_lt_i32 s60, s44                                      // 00000000667C: BF042C3C
	s_cbranch_scc0 label_1137                                  // 000000006680: BF840296
	s_addk_i32 s60, 0x20                                       // 000000006684: B73C0020
	v_add_u32_e32 v206, 64, v202                               // 000000006688: 699D94C0
	v_accvgpr_read_b32 v8, a16                                 // 00000000668C: D3D84008 18000110
	v_accvgpr_read_b32 v9, a17                                 // 000000006694: D3D84009 18000111
	v_accvgpr_read_b32 v10, a18                                // 00000000669C: D3D8400A 18000112
	v_accvgpr_read_b32 v11, a19                                // 0000000066A4: D3D8400B 18000113
	v_accvgpr_read_b32 v12, a24                                // 0000000066AC: D3D8400C 18000118
	v_accvgpr_read_b32 v13, a25                                // 0000000066B4: D3D8400D 18000119
	v_accvgpr_read_b32 v14, a26                                // 0000000066BC: D3D8400E 1800011A
	v_accvgpr_read_b32 v15, a27                                // 0000000066C4: D3D8400F 1800011B
	v_cvt_pk_bf16_f32 v16, v8, v9                              // 0000000066CC: D2680010 00021308
	v_cvt_pk_bf16_f32 v17, v10, v11                            // 0000000066D4: D2680011 0002170A
	v_cvt_pk_bf16_f32 v18, v12, v13                            // 0000000066DC: D2680012 00021B0C
	v_cvt_pk_bf16_f32 v19, v14, v15                            // 0000000066E4: D2680013 00021F0E
	s_nop 1                                                    // 0000000066EC: BF800001
	v_permlane16_swap_b32_e32 v16, v18                         // 0000000066F0: 7E20B312
	s_nop 1                                                    // 0000000066F4: BF800001
	v_permlane16_swap_b32_e32 v17, v19                         // 0000000066F8: 7E22B313
	s_nop 1                                                    // 0000000066FC: BF800001
	buffer_store_dwordx4 v[16:19], v206, s[4:7], 0 offen       // 000000006700: E07C1000 800110CE
	v_add_u32_e32 v206, s62, v206                              // 000000006708: 699D9C3E
	v_accvgpr_read_b32 v8, a20                                 // 00000000670C: D3D84008 18000114
	v_accvgpr_read_b32 v9, a21                                 // 000000006714: D3D84009 18000115
	v_accvgpr_read_b32 v10, a22                                // 00000000671C: D3D8400A 18000116
	v_accvgpr_read_b32 v11, a23                                // 000000006724: D3D8400B 18000117
	v_accvgpr_read_b32 v12, a28                                // 00000000672C: D3D8400C 1800011C
	v_accvgpr_read_b32 v13, a29                                // 000000006734: D3D8400D 1800011D
	v_accvgpr_read_b32 v14, a30                                // 00000000673C: D3D8400E 1800011E
	v_accvgpr_read_b32 v15, a31                                // 000000006744: D3D8400F 1800011F
	v_cvt_pk_bf16_f32 v16, v8, v9                              // 00000000674C: D2680010 00021308
	v_cvt_pk_bf16_f32 v17, v10, v11                            // 000000006754: D2680011 0002170A
	v_cvt_pk_bf16_f32 v18, v12, v13                            // 00000000675C: D2680012 00021B0C
	v_cvt_pk_bf16_f32 v19, v14, v15                            // 000000006764: D2680013 00021F0E
	s_nop 1                                                    // 00000000676C: BF800001
	v_permlane16_swap_b32_e32 v16, v18                         // 000000006770: 7E20B312
	s_nop 1                                                    // 000000006774: BF800001
	v_permlane16_swap_b32_e32 v17, v19                         // 000000006778: 7E22B313
	s_nop 1                                                    // 00000000677C: BF800001
	buffer_store_dwordx4 v[16:19], v206, s[4:7], 0 offen       // 000000006780: E07C1000 800110CE
	v_add_u32_e32 v206, s62, v206                              // 000000006788: 699D9C3E
	v_accvgpr_read_b32 v8, a112                                // 00000000678C: D3D84008 18000170
	v_accvgpr_read_b32 v9, a113                                // 000000006794: D3D84009 18000171
	v_accvgpr_read_b32 v10, a114                               // 00000000679C: D3D8400A 18000172
	v_accvgpr_read_b32 v11, a115                               // 0000000067A4: D3D8400B 18000173
	v_accvgpr_read_b32 v12, a120                               // 0000000067AC: D3D8400C 18000178
	v_accvgpr_read_b32 v13, a121                               // 0000000067B4: D3D8400D 18000179
	v_accvgpr_read_b32 v14, a122                               // 0000000067BC: D3D8400E 1800017A
	v_accvgpr_read_b32 v15, a123                               // 0000000067C4: D3D8400F 1800017B
	v_cvt_pk_bf16_f32 v16, v8, v9                              // 0000000067CC: D2680010 00021308
	v_cvt_pk_bf16_f32 v17, v10, v11                            // 0000000067D4: D2680011 0002170A
	v_cvt_pk_bf16_f32 v18, v12, v13                            // 0000000067DC: D2680012 00021B0C
	v_cvt_pk_bf16_f32 v19, v14, v15                            // 0000000067E4: D2680013 00021F0E
	s_nop 1                                                    // 0000000067EC: BF800001
	v_permlane16_swap_b32_e32 v16, v18                         // 0000000067F0: 7E20B312
	s_nop 1                                                    // 0000000067F4: BF800001
	v_permlane16_swap_b32_e32 v17, v19                         // 0000000067F8: 7E22B313
	s_nop 1                                                    // 0000000067FC: BF800001
	buffer_store_dwordx4 v[16:19], v206, s[4:7], 0 offen       // 000000006800: E07C1000 800110CE
	v_add_u32_e32 v206, s62, v206                              // 000000006808: 699D9C3E
	v_accvgpr_read_b32 v8, a116                                // 00000000680C: D3D84008 18000174
	v_accvgpr_read_b32 v9, a117                                // 000000006814: D3D84009 18000175
	v_accvgpr_read_b32 v10, a118                               // 00000000681C: D3D8400A 18000176
	v_accvgpr_read_b32 v11, a119                               // 000000006824: D3D8400B 18000177
	v_accvgpr_read_b32 v12, a124                               // 00000000682C: D3D8400C 1800017C
	v_accvgpr_read_b32 v13, a125                               // 000000006834: D3D8400D 1800017D
	v_accvgpr_read_b32 v14, a126                               // 00000000683C: D3D8400E 1800017E
	v_accvgpr_read_b32 v15, a127                               // 000000006844: D3D8400F 1800017F
	v_cvt_pk_bf16_f32 v16, v8, v9                              // 00000000684C: D2680010 00021308
	v_cvt_pk_bf16_f32 v17, v10, v11                            // 000000006854: D2680011 0002170A
	v_cvt_pk_bf16_f32 v18, v12, v13                            // 00000000685C: D2680012 00021B0C
	v_cvt_pk_bf16_f32 v19, v14, v15                            // 000000006864: D2680013 00021F0E
	s_nop 1                                                    // 00000000686C: BF800001
	v_permlane16_swap_b32_e32 v16, v18                         // 000000006870: 7E20B312
	s_nop 1                                                    // 000000006874: BF800001
	v_permlane16_swap_b32_e32 v17, v19                         // 000000006878: 7E22B313
	s_nop 1                                                    // 00000000687C: BF800001
	buffer_store_dwordx4 v[16:19], v206, s[4:7], 0 offen       // 000000006880: E07C1000 800110CE
	v_add_u32_e32 v206, s62, v206                              // 000000006888: 699D9C3E
	s_cmp_lt_i32 s60, s44                                      // 00000000688C: BF042C3C
	s_cbranch_scc0 label_1137                                  // 000000006890: BF840212
	s_addk_i32 s60, 0x20                                       // 000000006894: B73C0020
	v_add_u32_e32 v206, 0x80, v202                             // 000000006898: 699D94FF 00000080
	v_accvgpr_read_b32 v8, a32                                 // 0000000068A0: D3D84008 18000120
	v_accvgpr_read_b32 v9, a33                                 // 0000000068A8: D3D84009 18000121
	v_accvgpr_read_b32 v10, a34                                // 0000000068B0: D3D8400A 18000122
	v_accvgpr_read_b32 v11, a35                                // 0000000068B8: D3D8400B 18000123
	v_accvgpr_read_b32 v12, a40                                // 0000000068C0: D3D8400C 18000128
	v_accvgpr_read_b32 v13, a41                                // 0000000068C8: D3D8400D 18000129
	v_accvgpr_read_b32 v14, a42                                // 0000000068D0: D3D8400E 1800012A
	v_accvgpr_read_b32 v15, a43                                // 0000000068D8: D3D8400F 1800012B
	v_cvt_pk_bf16_f32 v16, v8, v9                              // 0000000068E0: D2680010 00021308
	v_cvt_pk_bf16_f32 v17, v10, v11                            // 0000000068E8: D2680011 0002170A
	v_cvt_pk_bf16_f32 v18, v12, v13                            // 0000000068F0: D2680012 00021B0C
	v_cvt_pk_bf16_f32 v19, v14, v15                            // 0000000068F8: D2680013 00021F0E
	s_nop 1                                                    // 000000006900: BF800001
	v_permlane16_swap_b32_e32 v16, v18                         // 000000006904: 7E20B312
	s_nop 1                                                    // 000000006908: BF800001
	v_permlane16_swap_b32_e32 v17, v19                         // 00000000690C: 7E22B313
	s_nop 1                                                    // 000000006910: BF800001
	buffer_store_dwordx4 v[16:19], v206, s[4:7], 0 offen       // 000000006914: E07C1000 800110CE
	v_add_u32_e32 v206, s62, v206                              // 00000000691C: 699D9C3E
	v_accvgpr_read_b32 v8, a36                                 // 000000006920: D3D84008 18000124
	v_accvgpr_read_b32 v9, a37                                 // 000000006928: D3D84009 18000125
	v_accvgpr_read_b32 v10, a38                                // 000000006930: D3D8400A 18000126
	v_accvgpr_read_b32 v11, a39                                // 000000006938: D3D8400B 18000127
	v_accvgpr_read_b32 v12, a44                                // 000000006940: D3D8400C 1800012C
	v_accvgpr_read_b32 v13, a45                                // 000000006948: D3D8400D 1800012D
	v_accvgpr_read_b32 v14, a46                                // 000000006950: D3D8400E 1800012E
	v_accvgpr_read_b32 v15, a47                                // 000000006958: D3D8400F 1800012F
	v_cvt_pk_bf16_f32 v16, v8, v9                              // 000000006960: D2680010 00021308
	v_cvt_pk_bf16_f32 v17, v10, v11                            // 000000006968: D2680011 0002170A
	v_cvt_pk_bf16_f32 v18, v12, v13                            // 000000006970: D2680012 00021B0C
	v_cvt_pk_bf16_f32 v19, v14, v15                            // 000000006978: D2680013 00021F0E
	s_nop 1                                                    // 000000006980: BF800001
	v_permlane16_swap_b32_e32 v16, v18                         // 000000006984: 7E20B312
	s_nop 1                                                    // 000000006988: BF800001
	v_permlane16_swap_b32_e32 v17, v19                         // 00000000698C: 7E22B313
	s_nop 1                                                    // 000000006990: BF800001
	buffer_store_dwordx4 v[16:19], v206, s[4:7], 0 offen       // 000000006994: E07C1000 800110CE
	v_add_u32_e32 v206, s62, v206                              // 00000000699C: 699D9C3E
	v_accvgpr_read_b32 v8, a128                                // 0000000069A0: D3D84008 18000180
	v_accvgpr_read_b32 v9, a129                                // 0000000069A8: D3D84009 18000181
	v_accvgpr_read_b32 v10, a130                               // 0000000069B0: D3D8400A 18000182
	v_accvgpr_read_b32 v11, a131                               // 0000000069B8: D3D8400B 18000183
	v_accvgpr_read_b32 v12, a136                               // 0000000069C0: D3D8400C 18000188
	v_accvgpr_read_b32 v13, a137                               // 0000000069C8: D3D8400D 18000189
	v_accvgpr_read_b32 v14, a138                               // 0000000069D0: D3D8400E 1800018A
	v_accvgpr_read_b32 v15, a139                               // 0000000069D8: D3D8400F 1800018B
	v_cvt_pk_bf16_f32 v16, v8, v9                              // 0000000069E0: D2680010 00021308
	v_cvt_pk_bf16_f32 v17, v10, v11                            // 0000000069E8: D2680011 0002170A
	v_cvt_pk_bf16_f32 v18, v12, v13                            // 0000000069F0: D2680012 00021B0C
	v_cvt_pk_bf16_f32 v19, v14, v15                            // 0000000069F8: D2680013 00021F0E
	s_nop 1                                                    // 000000006A00: BF800001
	v_permlane16_swap_b32_e32 v16, v18                         // 000000006A04: 7E20B312
	s_nop 1                                                    // 000000006A08: BF800001
	v_permlane16_swap_b32_e32 v17, v19                         // 000000006A0C: 7E22B313
	s_nop 1                                                    // 000000006A10: BF800001
	buffer_store_dwordx4 v[16:19], v206, s[4:7], 0 offen       // 000000006A14: E07C1000 800110CE
	v_add_u32_e32 v206, s62, v206                              // 000000006A1C: 699D9C3E
	v_accvgpr_read_b32 v8, a132                                // 000000006A20: D3D84008 18000184
	v_accvgpr_read_b32 v9, a133                                // 000000006A28: D3D84009 18000185
	v_accvgpr_read_b32 v10, a134                               // 000000006A30: D3D8400A 18000186
	v_accvgpr_read_b32 v11, a135                               // 000000006A38: D3D8400B 18000187
	v_accvgpr_read_b32 v12, a140                               // 000000006A40: D3D8400C 1800018C
	v_accvgpr_read_b32 v13, a141                               // 000000006A48: D3D8400D 1800018D
	v_accvgpr_read_b32 v14, a142                               // 000000006A50: D3D8400E 1800018E
	v_accvgpr_read_b32 v15, a143                               // 000000006A58: D3D8400F 1800018F
	v_cvt_pk_bf16_f32 v16, v8, v9                              // 000000006A60: D2680010 00021308
	v_cvt_pk_bf16_f32 v17, v10, v11                            // 000000006A68: D2680011 0002170A
	v_cvt_pk_bf16_f32 v18, v12, v13                            // 000000006A70: D2680012 00021B0C
	v_cvt_pk_bf16_f32 v19, v14, v15                            // 000000006A78: D2680013 00021F0E
	s_nop 1                                                    // 000000006A80: BF800001
	v_permlane16_swap_b32_e32 v16, v18                         // 000000006A84: 7E20B312
	s_nop 1                                                    // 000000006A88: BF800001
	v_permlane16_swap_b32_e32 v17, v19                         // 000000006A8C: 7E22B313
	s_nop 1                                                    // 000000006A90: BF800001
	buffer_store_dwordx4 v[16:19], v206, s[4:7], 0 offen       // 000000006A94: E07C1000 800110CE
	v_add_u32_e32 v206, s62, v206                              // 000000006A9C: 699D9C3E
	s_cmp_lt_i32 s60, s44                                      // 000000006AA0: BF042C3C
	s_cbranch_scc0 label_1137                                  // 000000006AA4: BF84018D
	s_addk_i32 s60, 0x20                                       // 000000006AA8: B73C0020
	v_add_u32_e32 v206, 0xc0, v202                             // 000000006AAC: 699D94FF 000000C0
	v_accvgpr_read_b32 v8, a48                                 // 000000006AB4: D3D84008 18000130
	v_accvgpr_read_b32 v9, a49                                 // 000000006ABC: D3D84009 18000131
	v_accvgpr_read_b32 v10, a50                                // 000000006AC4: D3D8400A 18000132
	v_accvgpr_read_b32 v11, a51                                // 000000006ACC: D3D8400B 18000133
	v_accvgpr_read_b32 v12, a56                                // 000000006AD4: D3D8400C 18000138
	v_accvgpr_read_b32 v13, a57                                // 000000006ADC: D3D8400D 18000139
	v_accvgpr_read_b32 v14, a58                                // 000000006AE4: D3D8400E 1800013A
	v_accvgpr_read_b32 v15, a59                                // 000000006AEC: D3D8400F 1800013B
	v_cvt_pk_bf16_f32 v16, v8, v9                              // 000000006AF4: D2680010 00021308
	v_cvt_pk_bf16_f32 v17, v10, v11                            // 000000006AFC: D2680011 0002170A
	v_cvt_pk_bf16_f32 v18, v12, v13                            // 000000006B04: D2680012 00021B0C
	v_cvt_pk_bf16_f32 v19, v14, v15                            // 000000006B0C: D2680013 00021F0E
	s_nop 1                                                    // 000000006B14: BF800001
	v_permlane16_swap_b32_e32 v16, v18                         // 000000006B18: 7E20B312
	s_nop 1                                                    // 000000006B1C: BF800001
	v_permlane16_swap_b32_e32 v17, v19                         // 000000006B20: 7E22B313
	s_nop 1                                                    // 000000006B24: BF800001
	buffer_store_dwordx4 v[16:19], v206, s[4:7], 0 offen       // 000000006B28: E07C1000 800110CE
	v_add_u32_e32 v206, s62, v206                              // 000000006B30: 699D9C3E
	v_accvgpr_read_b32 v8, a52                                 // 000000006B34: D3D84008 18000134
	v_accvgpr_read_b32 v9, a53                                 // 000000006B3C: D3D84009 18000135
	v_accvgpr_read_b32 v10, a54                                // 000000006B44: D3D8400A 18000136
	v_accvgpr_read_b32 v11, a55                                // 000000006B4C: D3D8400B 18000137
	v_accvgpr_read_b32 v12, a60                                // 000000006B54: D3D8400C 1800013C
	v_accvgpr_read_b32 v13, a61                                // 000000006B5C: D3D8400D 1800013D
	v_accvgpr_read_b32 v14, a62                                // 000000006B64: D3D8400E 1800013E
	v_accvgpr_read_b32 v15, a63                                // 000000006B6C: D3D8400F 1800013F
	v_cvt_pk_bf16_f32 v16, v8, v9                              // 000000006B74: D2680010 00021308
	v_cvt_pk_bf16_f32 v17, v10, v11                            // 000000006B7C: D2680011 0002170A
	v_cvt_pk_bf16_f32 v18, v12, v13                            // 000000006B84: D2680012 00021B0C
	v_cvt_pk_bf16_f32 v19, v14, v15                            // 000000006B8C: D2680013 00021F0E
	s_nop 1                                                    // 000000006B94: BF800001
	v_permlane16_swap_b32_e32 v16, v18                         // 000000006B98: 7E20B312
	s_nop 1                                                    // 000000006B9C: BF800001
	v_permlane16_swap_b32_e32 v17, v19                         // 000000006BA0: 7E22B313
	s_nop 1                                                    // 000000006BA4: BF800001
	buffer_store_dwordx4 v[16:19], v206, s[4:7], 0 offen       // 000000006BA8: E07C1000 800110CE
	v_add_u32_e32 v206, s62, v206                              // 000000006BB0: 699D9C3E
	v_accvgpr_read_b32 v8, a144                                // 000000006BB4: D3D84008 18000190
	v_accvgpr_read_b32 v9, a145                                // 000000006BBC: D3D84009 18000191
	v_accvgpr_read_b32 v10, a146                               // 000000006BC4: D3D8400A 18000192
	v_accvgpr_read_b32 v11, a147                               // 000000006BCC: D3D8400B 18000193
	v_accvgpr_read_b32 v12, a152                               // 000000006BD4: D3D8400C 18000198
	v_accvgpr_read_b32 v13, a153                               // 000000006BDC: D3D8400D 18000199
	v_accvgpr_read_b32 v14, a154                               // 000000006BE4: D3D8400E 1800019A
	v_accvgpr_read_b32 v15, a155                               // 000000006BEC: D3D8400F 1800019B
	v_cvt_pk_bf16_f32 v16, v8, v9                              // 000000006BF4: D2680010 00021308
	v_cvt_pk_bf16_f32 v17, v10, v11                            // 000000006BFC: D2680011 0002170A
	v_cvt_pk_bf16_f32 v18, v12, v13                            // 000000006C04: D2680012 00021B0C
	v_cvt_pk_bf16_f32 v19, v14, v15                            // 000000006C0C: D2680013 00021F0E
	s_nop 1                                                    // 000000006C14: BF800001
	v_permlane16_swap_b32_e32 v16, v18                         // 000000006C18: 7E20B312
	s_nop 1                                                    // 000000006C1C: BF800001
	v_permlane16_swap_b32_e32 v17, v19                         // 000000006C20: 7E22B313
	s_nop 1                                                    // 000000006C24: BF800001
	buffer_store_dwordx4 v[16:19], v206, s[4:7], 0 offen       // 000000006C28: E07C1000 800110CE
	v_add_u32_e32 v206, s62, v206                              // 000000006C30: 699D9C3E
	v_accvgpr_read_b32 v8, a148                                // 000000006C34: D3D84008 18000194
	v_accvgpr_read_b32 v9, a149                                // 000000006C3C: D3D84009 18000195
	v_accvgpr_read_b32 v10, a150                               // 000000006C44: D3D8400A 18000196
	v_accvgpr_read_b32 v11, a151                               // 000000006C4C: D3D8400B 18000197
	v_accvgpr_read_b32 v12, a156                               // 000000006C54: D3D8400C 1800019C
	v_accvgpr_read_b32 v13, a157                               // 000000006C5C: D3D8400D 1800019D
	v_accvgpr_read_b32 v14, a158                               // 000000006C64: D3D8400E 1800019E
	v_accvgpr_read_b32 v15, a159                               // 000000006C6C: D3D8400F 1800019F
	v_cvt_pk_bf16_f32 v16, v8, v9                              // 000000006C74: D2680010 00021308
	v_cvt_pk_bf16_f32 v17, v10, v11                            // 000000006C7C: D2680011 0002170A
	v_cvt_pk_bf16_f32 v18, v12, v13                            // 000000006C84: D2680012 00021B0C
	v_cvt_pk_bf16_f32 v19, v14, v15                            // 000000006C8C: D2680013 00021F0E
	s_nop 1                                                    // 000000006C94: BF800001
	v_permlane16_swap_b32_e32 v16, v18                         // 000000006C98: 7E20B312
	s_nop 1                                                    // 000000006C9C: BF800001
	v_permlane16_swap_b32_e32 v17, v19                         // 000000006CA0: 7E22B313
	s_nop 1                                                    // 000000006CA4: BF800001
	buffer_store_dwordx4 v[16:19], v206, s[4:7], 0 offen       // 000000006CA8: E07C1000 800110CE
	v_add_u32_e32 v206, s62, v206                              // 000000006CB0: 699D9C3E
	s_cmp_lt_i32 s60, s44                                      // 000000006CB4: BF042C3C
	s_cbranch_scc0 label_1137                                  // 000000006CB8: BF840108
	s_addk_i32 s60, 0x20                                       // 000000006CBC: B73C0020
	v_add_u32_e32 v206, 0x100, v202                            // 000000006CC0: 699D94FF 00000100
	v_accvgpr_read_b32 v8, a64                                 // 000000006CC8: D3D84008 18000140
	v_accvgpr_read_b32 v9, a65                                 // 000000006CD0: D3D84009 18000141
	v_accvgpr_read_b32 v10, a66                                // 000000006CD8: D3D8400A 18000142
	v_accvgpr_read_b32 v11, a67                                // 000000006CE0: D3D8400B 18000143
	v_accvgpr_read_b32 v12, a72                                // 000000006CE8: D3D8400C 18000148
	v_accvgpr_read_b32 v13, a73                                // 000000006CF0: D3D8400D 18000149
	v_accvgpr_read_b32 v14, a74                                // 000000006CF8: D3D8400E 1800014A
	v_accvgpr_read_b32 v15, a75                                // 000000006D00: D3D8400F 1800014B
	v_cvt_pk_bf16_f32 v16, v8, v9                              // 000000006D08: D2680010 00021308
	v_cvt_pk_bf16_f32 v17, v10, v11                            // 000000006D10: D2680011 0002170A
	v_cvt_pk_bf16_f32 v18, v12, v13                            // 000000006D18: D2680012 00021B0C
	v_cvt_pk_bf16_f32 v19, v14, v15                            // 000000006D20: D2680013 00021F0E
	s_nop 1                                                    // 000000006D28: BF800001
	v_permlane16_swap_b32_e32 v16, v18                         // 000000006D2C: 7E20B312
	s_nop 1                                                    // 000000006D30: BF800001
	v_permlane16_swap_b32_e32 v17, v19                         // 000000006D34: 7E22B313
	s_nop 1                                                    // 000000006D38: BF800001
	buffer_store_dwordx4 v[16:19], v206, s[4:7], 0 offen       // 000000006D3C: E07C1000 800110CE
	v_add_u32_e32 v206, s62, v206                              // 000000006D44: 699D9C3E
	v_accvgpr_read_b32 v8, a68                                 // 000000006D48: D3D84008 18000144
	v_accvgpr_read_b32 v9, a69                                 // 000000006D50: D3D84009 18000145
	v_accvgpr_read_b32 v10, a70                                // 000000006D58: D3D8400A 18000146
	v_accvgpr_read_b32 v11, a71                                // 000000006D60: D3D8400B 18000147
	v_accvgpr_read_b32 v12, a76                                // 000000006D68: D3D8400C 1800014C
	v_accvgpr_read_b32 v13, a77                                // 000000006D70: D3D8400D 1800014D
	v_accvgpr_read_b32 v14, a78                                // 000000006D78: D3D8400E 1800014E
	v_accvgpr_read_b32 v15, a79                                // 000000006D80: D3D8400F 1800014F
	v_cvt_pk_bf16_f32 v16, v8, v9                              // 000000006D88: D2680010 00021308
	v_cvt_pk_bf16_f32 v17, v10, v11                            // 000000006D90: D2680011 0002170A
	v_cvt_pk_bf16_f32 v18, v12, v13                            // 000000006D98: D2680012 00021B0C
	v_cvt_pk_bf16_f32 v19, v14, v15                            // 000000006DA0: D2680013 00021F0E
	s_nop 1                                                    // 000000006DA8: BF800001
	v_permlane16_swap_b32_e32 v16, v18                         // 000000006DAC: 7E20B312
	s_nop 1                                                    // 000000006DB0: BF800001
	v_permlane16_swap_b32_e32 v17, v19                         // 000000006DB4: 7E22B313
	s_nop 1                                                    // 000000006DB8: BF800001
	buffer_store_dwordx4 v[16:19], v206, s[4:7], 0 offen       // 000000006DBC: E07C1000 800110CE
	v_add_u32_e32 v206, s62, v206                              // 000000006DC4: 699D9C3E
	v_accvgpr_read_b32 v8, a160                                // 000000006DC8: D3D84008 180001A0
	v_accvgpr_read_b32 v9, a161                                // 000000006DD0: D3D84009 180001A1
	v_accvgpr_read_b32 v10, a162                               // 000000006DD8: D3D8400A 180001A2
	v_accvgpr_read_b32 v11, a163                               // 000000006DE0: D3D8400B 180001A3
	v_accvgpr_read_b32 v12, a168                               // 000000006DE8: D3D8400C 180001A8
	v_accvgpr_read_b32 v13, a169                               // 000000006DF0: D3D8400D 180001A9
	v_accvgpr_read_b32 v14, a170                               // 000000006DF8: D3D8400E 180001AA
	v_accvgpr_read_b32 v15, a171                               // 000000006E00: D3D8400F 180001AB
	v_cvt_pk_bf16_f32 v16, v8, v9                              // 000000006E08: D2680010 00021308
	v_cvt_pk_bf16_f32 v17, v10, v11                            // 000000006E10: D2680011 0002170A
	v_cvt_pk_bf16_f32 v18, v12, v13                            // 000000006E18: D2680012 00021B0C
	v_cvt_pk_bf16_f32 v19, v14, v15                            // 000000006E20: D2680013 00021F0E
	s_nop 1                                                    // 000000006E28: BF800001
	v_permlane16_swap_b32_e32 v16, v18                         // 000000006E2C: 7E20B312
	s_nop 1                                                    // 000000006E30: BF800001
	v_permlane16_swap_b32_e32 v17, v19                         // 000000006E34: 7E22B313
	s_nop 1                                                    // 000000006E38: BF800001
	buffer_store_dwordx4 v[16:19], v206, s[4:7], 0 offen       // 000000006E3C: E07C1000 800110CE
	v_add_u32_e32 v206, s62, v206                              // 000000006E44: 699D9C3E
	v_accvgpr_read_b32 v8, a164                                // 000000006E48: D3D84008 180001A4
	v_accvgpr_read_b32 v9, a165                                // 000000006E50: D3D84009 180001A5
	v_accvgpr_read_b32 v10, a166                               // 000000006E58: D3D8400A 180001A6
	v_accvgpr_read_b32 v11, a167                               // 000000006E60: D3D8400B 180001A7
	v_accvgpr_read_b32 v12, a172                               // 000000006E68: D3D8400C 180001AC
	v_accvgpr_read_b32 v13, a173                               // 000000006E70: D3D8400D 180001AD
	v_accvgpr_read_b32 v14, a174                               // 000000006E78: D3D8400E 180001AE
	v_accvgpr_read_b32 v15, a175                               // 000000006E80: D3D8400F 180001AF
	v_cvt_pk_bf16_f32 v16, v8, v9                              // 000000006E88: D2680010 00021308
	v_cvt_pk_bf16_f32 v17, v10, v11                            // 000000006E90: D2680011 0002170A
	v_cvt_pk_bf16_f32 v18, v12, v13                            // 000000006E98: D2680012 00021B0C
	v_cvt_pk_bf16_f32 v19, v14, v15                            // 000000006EA0: D2680013 00021F0E
	s_nop 1                                                    // 000000006EA8: BF800001
	v_permlane16_swap_b32_e32 v16, v18                         // 000000006EAC: 7E20B312
	s_nop 1                                                    // 000000006EB0: BF800001
	v_permlane16_swap_b32_e32 v17, v19                         // 000000006EB4: 7E22B313
	s_nop 1                                                    // 000000006EB8: BF800001
	buffer_store_dwordx4 v[16:19], v206, s[4:7], 0 offen       // 000000006EBC: E07C1000 800110CE
	v_add_u32_e32 v206, s62, v206                              // 000000006EC4: 699D9C3E
	s_cmp_lt_i32 s60, s44                                      // 000000006EC8: BF042C3C
	s_cbranch_scc0 label_1137                                  // 000000006ECC: BF840083
	s_addk_i32 s60, 0x20                                       // 000000006ED0: B73C0020
	v_add_u32_e32 v206, 0x140, v202                            // 000000006ED4: 699D94FF 00000140
	v_accvgpr_read_b32 v8, a80                                 // 000000006EDC: D3D84008 18000150
	v_accvgpr_read_b32 v9, a81                                 // 000000006EE4: D3D84009 18000151
	v_accvgpr_read_b32 v10, a82                                // 000000006EEC: D3D8400A 18000152
	v_accvgpr_read_b32 v11, a83                                // 000000006EF4: D3D8400B 18000153
	v_accvgpr_read_b32 v12, a88                                // 000000006EFC: D3D8400C 18000158
	v_accvgpr_read_b32 v13, a89                                // 000000006F04: D3D8400D 18000159
	v_accvgpr_read_b32 v14, a90                                // 000000006F0C: D3D8400E 1800015A
	v_accvgpr_read_b32 v15, a91                                // 000000006F14: D3D8400F 1800015B
	v_cvt_pk_bf16_f32 v16, v8, v9                              // 000000006F1C: D2680010 00021308
	v_cvt_pk_bf16_f32 v17, v10, v11                            // 000000006F24: D2680011 0002170A
	v_cvt_pk_bf16_f32 v18, v12, v13                            // 000000006F2C: D2680012 00021B0C
	v_cvt_pk_bf16_f32 v19, v14, v15                            // 000000006F34: D2680013 00021F0E
	s_nop 1                                                    // 000000006F3C: BF800001
	v_permlane16_swap_b32_e32 v16, v18                         // 000000006F40: 7E20B312
	s_nop 1                                                    // 000000006F44: BF800001
	v_permlane16_swap_b32_e32 v17, v19                         // 000000006F48: 7E22B313
	s_nop 1                                                    // 000000006F4C: BF800001
	buffer_store_dwordx4 v[16:19], v206, s[4:7], 0 offen       // 000000006F50: E07C1000 800110CE
	v_add_u32_e32 v206, s62, v206                              // 000000006F58: 699D9C3E
	v_accvgpr_read_b32 v8, a84                                 // 000000006F5C: D3D84008 18000154
	v_accvgpr_read_b32 v9, a85                                 // 000000006F64: D3D84009 18000155
	v_accvgpr_read_b32 v10, a86                                // 000000006F6C: D3D8400A 18000156
	v_accvgpr_read_b32 v11, a87                                // 000000006F74: D3D8400B 18000157
	v_accvgpr_read_b32 v12, a92                                // 000000006F7C: D3D8400C 1800015C
	v_accvgpr_read_b32 v13, a93                                // 000000006F84: D3D8400D 1800015D
	v_accvgpr_read_b32 v14, a94                                // 000000006F8C: D3D8400E 1800015E
	v_accvgpr_read_b32 v15, a95                                // 000000006F94: D3D8400F 1800015F
	v_cvt_pk_bf16_f32 v16, v8, v9                              // 000000006F9C: D2680010 00021308
	v_cvt_pk_bf16_f32 v17, v10, v11                            // 000000006FA4: D2680011 0002170A
	v_cvt_pk_bf16_f32 v18, v12, v13                            // 000000006FAC: D2680012 00021B0C
	v_cvt_pk_bf16_f32 v19, v14, v15                            // 000000006FB4: D2680013 00021F0E
	s_nop 1                                                    // 000000006FBC: BF800001
	v_permlane16_swap_b32_e32 v16, v18                         // 000000006FC0: 7E20B312
	s_nop 1                                                    // 000000006FC4: BF800001
	v_permlane16_swap_b32_e32 v17, v19                         // 000000006FC8: 7E22B313
	s_nop 1                                                    // 000000006FCC: BF800001
	buffer_store_dwordx4 v[16:19], v206, s[4:7], 0 offen       // 000000006FD0: E07C1000 800110CE
	v_add_u32_e32 v206, s62, v206                              // 000000006FD8: 699D9C3E
	v_accvgpr_read_b32 v8, a176                                // 000000006FDC: D3D84008 180001B0
	v_accvgpr_read_b32 v9, a177                                // 000000006FE4: D3D84009 180001B1
	v_accvgpr_read_b32 v10, a178                               // 000000006FEC: D3D8400A 180001B2
	v_accvgpr_read_b32 v11, a179                               // 000000006FF4: D3D8400B 180001B3
	v_accvgpr_read_b32 v12, a184                               // 000000006FFC: D3D8400C 180001B8
	v_accvgpr_read_b32 v13, a185                               // 000000007004: D3D8400D 180001B9
	v_accvgpr_read_b32 v14, a186                               // 00000000700C: D3D8400E 180001BA
	v_accvgpr_read_b32 v15, a187                               // 000000007014: D3D8400F 180001BB
	v_cvt_pk_bf16_f32 v16, v8, v9                              // 00000000701C: D2680010 00021308
	v_cvt_pk_bf16_f32 v17, v10, v11                            // 000000007024: D2680011 0002170A
	v_cvt_pk_bf16_f32 v18, v12, v13                            // 00000000702C: D2680012 00021B0C
	v_cvt_pk_bf16_f32 v19, v14, v15                            // 000000007034: D2680013 00021F0E
	s_nop 1                                                    // 00000000703C: BF800001
	v_permlane16_swap_b32_e32 v16, v18                         // 000000007040: 7E20B312
	s_nop 1                                                    // 000000007044: BF800001
	v_permlane16_swap_b32_e32 v17, v19                         // 000000007048: 7E22B313
	s_nop 1                                                    // 00000000704C: BF800001
	buffer_store_dwordx4 v[16:19], v206, s[4:7], 0 offen       // 000000007050: E07C1000 800110CE
	v_add_u32_e32 v206, s62, v206                              // 000000007058: 699D9C3E
	v_accvgpr_read_b32 v8, a180                                // 00000000705C: D3D84008 180001B4
	v_accvgpr_read_b32 v9, a181                                // 000000007064: D3D84009 180001B5
	v_accvgpr_read_b32 v10, a182                               // 00000000706C: D3D8400A 180001B6
	v_accvgpr_read_b32 v11, a183                               // 000000007074: D3D8400B 180001B7
	v_accvgpr_read_b32 v12, a188                               // 00000000707C: D3D8400C 180001BC
	v_accvgpr_read_b32 v13, a189                               // 000000007084: D3D8400D 180001BD
	v_accvgpr_read_b32 v14, a190                               // 00000000708C: D3D8400E 180001BE
	v_accvgpr_read_b32 v15, a191                               // 000000007094: D3D8400F 180001BF
	v_cvt_pk_bf16_f32 v16, v8, v9                              // 00000000709C: D2680010 00021308
	v_cvt_pk_bf16_f32 v17, v10, v11                            // 0000000070A4: D2680011 0002170A
	v_cvt_pk_bf16_f32 v18, v12, v13                            // 0000000070AC: D2680012 00021B0C
	v_cvt_pk_bf16_f32 v19, v14, v15                            // 0000000070B4: D2680013 00021F0E
	s_nop 1                                                    // 0000000070BC: BF800001
	v_permlane16_swap_b32_e32 v16, v18                         // 0000000070C0: 7E20B312
	s_nop 1                                                    // 0000000070C4: BF800001
	v_permlane16_swap_b32_e32 v17, v19                         // 0000000070C8: 7E22B313
	s_nop 1                                                    // 0000000070CC: BF800001
	buffer_store_dwordx4 v[16:19], v206, s[4:7], 0 offen       // 0000000070D0: E07C1000 800110CE
	v_add_u32_e32 v206, s62, v206                              // 0000000070D8: 699D9C3E

00000000000070dc <label_1137>:
	s_waitcnt vmcnt(0) expcnt(0) lgkmcnt(0)                    // 0000000070DC: BF8C0000
	s_endpgm                                                   // 0000000070E0: BF810000
